;; amdgpu-corpus repo=ROCm/rccl kind=compiled arch=gfx950 opt=O3
	.amdgcn_target "amdgcn-amd-amdhsa--gfx950"
	.amdhsa_code_object_version 6
	.text
	.p2align	2                               ; -- Begin function _ZN12_GLOBAL__N_17runRingId8FuncProdIdE7ProtoLLLi0ELi1ELi0EEEviiP15ncclDevWorkColl
	.type	_ZN12_GLOBAL__N_17runRingId8FuncProdIdE7ProtoLLLi0ELi1ELi0EEEviiP15ncclDevWorkColl,@function
_ZN12_GLOBAL__N_17runRingId8FuncProdIdE7ProtoLLLi0ELi1ELi0EEEviiP15ncclDevWorkColl: ; @_ZN12_GLOBAL__N_17runRingId8FuncProdIdE7ProtoLLLi0ELi1ELi0EEEviiP15ncclDevWorkColl
; %bb.0:
	s_waitcnt vmcnt(0) expcnt(0) lgkmcnt(0)
	scratch_store_dword off, v40, s32 offset:76 ; 4-byte Folded Spill
	scratch_store_dword off, v41, s32 offset:72 ; 4-byte Folded Spill
	;; [unrolled: 1-line block ×19, first 2 shown]
	scratch_store_dword off, v75, s32       ; 4-byte Folded Spill
	s_trap 2
	flat_load_dword v9, v[2:3]
	flat_load_dwordx4 v[4:7], v[2:3] offset:72
	flat_load_dwordx2 v[16:17], v[2:3] offset:88
	s_movk_i32 s0, 0xff
	v_mov_b32_e32 v22, v1
	ds_read_b32 v1, v0
	ds_read_b64 v[24:25], v0
                                        ; implicit-def: $vgpr86_vgpr87
                                        ; implicit-def: $vgpr26_vgpr27
	s_waitcnt lgkmcnt(0)
	v_readfirstlane_b32 s20, v1
	s_waitcnt vmcnt(0)
	v_bitop3_b32 v8, v9, s0, v9 bitop3:0x3f
	v_add_u32_sdwa v10, v9, v8 dst_sel:DWORD dst_unused:UNUSED_PAD src0_sel:BYTE_1 src1_sel:DWORD
	v_ashrrev_i32_e32 v11, 31, v10
	v_mul_lo_u32 v12, v7, v10
	v_mad_u64_u32 v[18:19], s[0:1], v6, v10, 0
	v_mul_lo_u32 v10, v6, v11
	v_add3_u32 v19, v19, v10, v12
	v_cmp_ne_u32_sdwa s[0:1], v1, v9 src0_sel:DWORD src1_sel:BYTE_0
	s_and_saveexec_b64 s[2:3], s[0:1]
	s_xor_b64 s[0:1], exec, s[2:3]
	s_cbranch_execz .LBB0_6
; %bb.1:
	v_cmp_ne_u32_sdwa s[2:3], v1, v9 src0_sel:DWORD src1_sel:BYTE_1
                                        ; implicit-def: $vgpr86_vgpr87
                                        ; implicit-def: $vgpr26_vgpr27
	s_and_saveexec_b64 s[4:5], s[2:3]
	s_xor_b64 s[2:3], exec, s[4:5]
	s_cbranch_execz .LBB0_3
; %bb.2:
	flat_load_dwordx2 v[10:11], v[2:3] offset:96
	v_add_u32_e32 v1, v1, v8
	v_ashrrev_i32_e32 v8, 31, v1
	v_mul_lo_u32 v8, v6, v8
	v_mul_lo_u32 v9, v7, v1
	v_mad_u64_u32 v[26:27], s[4:5], v6, v1, v[4:5]
	v_add3_u32 v27, v9, v27, v8
	s_waitcnt vmcnt(0) lgkmcnt(0)
	v_lshrrev_b64 v[86:87], 20, v[10:11]
.LBB0_3:
	s_andn2_saveexec_b64 s[2:3], s[2:3]
	s_cbranch_execz .LBB0_5
; %bb.4:
	flat_load_dword v1, v[2:3] offset:100
	v_lshl_add_u64 v[26:27], v[18:19], 0, v[4:5]
	v_mov_b64_e32 v[6:7], v[16:17]
	s_waitcnt vmcnt(0) lgkmcnt(0)
	v_lshrrev_b32_e32 v86, 9, v1
.LBB0_5:
	s_or_b64 exec, exec, s[2:3]
.LBB0_6:
	s_andn2_saveexec_b64 s[0:1], s[0:1]
	s_cbranch_execz .LBB0_8
; %bb.7:
	flat_load_dwordx2 v[6:7], v[2:3] offset:96
	v_mov_b64_e32 v[26:27], 0
	s_waitcnt vmcnt(0) lgkmcnt(0)
	v_lshlrev_b64 v[86:87], 1, v[6:7]
	v_mov_b64_e32 v[6:7], v[4:5]
.LBB0_8:
	s_or_b64 exec, exec, s[0:1]
	flat_load_ushort v13, v[2:3] offset:8
	flat_load_dword v12, v[2:3] offset:4
	s_load_dword s0, s[8:9], 0x0
	v_mov_b32_e32 v69, 0
	flat_load_dwordx4 v[8:11], v[2:3] offset:16
	v_ashrrev_i32_e32 v1, 31, v0
	v_lshrrev_b32_e32 v2, 26, v1
	s_waitcnt lgkmcnt(0)
	s_cmp_lt_u32 s12, s0
	s_cselect_b32 s0, 12, 18
	s_add_u32 s0, s8, s0
	s_addc_u32 s1, s9, 0
	global_load_ushort v30, v69, s[0:1]
	s_trap 2
	ds_read_b32 v68, v0
	v_add_u32_e32 v14, v0, v2
	s_mov_b32 s2, 0
	v_mov_b64_e32 v[28:29], 0
	s_waitcnt lgkmcnt(0)
	v_cmp_gt_i32_e32 vcc, 0, v68
	s_and_b64 vcc, exec, vcc
	s_waitcnt vmcnt(0)
	v_lshrrev_b64 v[2:3], 31, v[12:13]
	v_and_b32_e32 v15, 3, v2
	v_and_b32_e32 v2, 0xffffffc0, v14
	v_sub_u32_e32 v14, v0, v2
	v_cmp_eq_u32_e64 s[0:1], 0, v14
	s_cbranch_vccnz .LBB0_10
; %bb.9:
	s_trap 2
	ds_read_b64 v[2:3], v0
	v_lshlrev_b64 v[12:13], 3, v[68:69]
	s_movk_i32 s2, 0xa8
	s_waitcnt lgkmcnt(0)
	v_lshl_add_u64 v[2:3], v[2:3], 0, v[12:13]
	flat_load_dwordx2 v[2:3], v[2:3]
	v_and_b32_e32 v12, 0xffff, v15
	s_waitcnt vmcnt(0) lgkmcnt(0)
	v_mad_u64_u32 v[2:3], s[2:3], v12, s2, v[2:3]
	flat_load_dwordx2 v[34:35], v[2:3] offset:504
	flat_load_dwordx2 v[36:37], v[2:3] offset:608
	s_mov_b64 s[2:3], 0x1f8
	v_lshl_add_u64 v[32:33], v[2:3], 0, s[2:3]
	v_cndmask_b32_e64 v3, 0, v33, s[0:1]
	v_cndmask_b32_e64 v2, 0, v32, s[0:1]
	s_mov_b32 s2, 1
	s_branch .LBB0_11
.LBB0_10:
	v_mov_b64_e32 v[32:33], 0
                                        ; implicit-def: $vgpr36_vgpr37
                                        ; implicit-def: $vgpr34_vgpr35
	v_mov_b64_e32 v[2:3], 0
.LBB0_11:
	s_trap 2
	ds_read_b32 v12, v0
	s_waitcnt lgkmcnt(0)
	v_cmp_gt_i32_e32 vcc, 0, v12
	s_cbranch_vccnz .LBB0_13
; %bb.12:
	s_trap 2
	ds_read_b64 v[20:21], v0
	v_mov_b32_e32 v13, 0
	v_lshlrev_b64 v[12:13], 3, v[12:13]
	v_and_b32_e32 v15, 0xffff, v15
	s_movk_i32 s0, 0xa8
	s_waitcnt lgkmcnt(0)
	v_lshl_add_u64 v[12:13], v[20:21], 0, v[12:13]
	flat_load_dwordx2 v[12:13], v[12:13]
	v_cmp_eq_u32_e32 vcc, 0, v14
	s_waitcnt vmcnt(0) lgkmcnt(0)
	v_mad_u64_u32 v[28:29], s[0:1], v15, s0, v[12:13]
	flat_load_dwordx2 v[38:39], v[28:29]
	flat_load_dwordx2 v[20:21], v[28:29] offset:104
	v_cndmask_b32_e32 v55, 0, v29, vcc
	v_cndmask_b32_e32 v54, 0, v28, vcc
	s_branch .LBB0_14
.LBB0_13:
                                        ; implicit-def: $vgpr20_vgpr21
                                        ; implicit-def: $vgpr38_vgpr39
	v_mov_b64_e32 v[54:55], 0
.LBB0_14:
	v_subrev_u32_e32 v12, 64, v22
	v_cmp_ge_i32_e32 vcc, v0, v12
	v_cmp_gt_i32_e64 s[0:1], s2, v14
	s_and_b64 s[22:23], vcc, s[0:1]
	v_mov_b64_e32 v[12:13], 0
	v_mov_b64_e32 v[50:51], 0
                                        ; implicit-def: $vgpr48_vgpr49
	s_and_saveexec_b64 s[0:1], s[22:23]
	s_cbranch_execz .LBB0_16
; %bb.15:
	flat_load_dwordx2 v[50:51], v[2:3] offset:56
	flat_load_dwordx2 v[48:49], v[2:3] offset:104
.LBB0_16:
	s_or_b64 exec, exec, s[0:1]
	v_cmp_gt_i32_e64 s[0:1], s2, v0
	v_mov_b64_e32 v[52:53], 0
                                        ; implicit-def: $vgpr64_vgpr65
	s_and_saveexec_b64 s[2:3], s[0:1]
	s_cbranch_execz .LBB0_18
; %bb.17:
	flat_load_dwordx2 v[52:53], v[54:55] offset:56
	s_waitcnt vmcnt(0) lgkmcnt(0)
	flat_load_dwordx2 v[64:65], v[52:53] sc0 sc1
	s_waitcnt vmcnt(0)
	flat_load_dwordx4 v[12:15], v[54:55] offset:96
.LBB0_18:
	s_or_b64 exec, exec, s[2:3]
	v_mov_b64_e32 v[54:55], 0
	v_cmp_ne_u64_e32 vcc, 0, v[6:7]
	s_and_saveexec_b64 s[24:25], vcc
	s_cbranch_execnz .LBB0_22
; %bb.19:
	s_or_b64 exec, exec, s[24:25]
	s_and_saveexec_b64 s[2:3], s[22:23]
	s_cbranch_execnz .LBB0_190
.LBB0_20:
	s_or_b64 exec, exec, s[2:3]
	s_and_saveexec_b64 s[2:3], s[0:1]
	s_cbranch_execnz .LBB0_191
.LBB0_21:
	s_or_b64 exec, exec, s[2:3]
	v_cmp_ne_u32_e32 vcc, 64, v22
	s_and_saveexec_b64 s[0:1], vcc
	s_cbranch_execnz .LBB0_192
	s_branch .LBB0_209
.LBB0_22:
	v_ashrrev_i32_e32 v3, 31, v68
	s_ashr_i32 s21, s20, 31
	v_lshrrev_b32_e32 v3, 29, v3
	v_lshl_add_u64 v[4:5], v[16:17], 0, v[4:5]
	s_lshl_b64 s[2:3], s[20:21], 2
	v_add_u32_e32 v3, v68, v3
	v_lshl_add_u64 v[68:69], v[4:5], 0, v[18:19]
	v_lshl_add_u64 v[4:5], v[24:25], 0, s[2:3]
	v_mov_b32_e32 v2, 0
	v_ashrrev_i32_e32 v58, 7, v3
	v_lshl_add_u64 v[70:71], v[4:5], 0, -4
	v_and_b32_e32 v3, 63, v31
	v_lshlrev_b64 v[4:5], 3, v[0:1]
	v_cmp_eq_u32_e64 s[8:9], 0, v3
	v_mov_b32_e32 v23, v2
	s_cmp_gt_i32 s20, 2
	v_lshl_add_u64 v[82:83], v[10:11], 0, v[4:5]
	v_lshl_add_u64 v[84:85], v[8:9], 0, v[4:5]
	v_and_b32_e32 v8, 7, v8
	v_mov_b32_e32 v9, v2
	v_lshl_add_u64 v[4:5], v[26:27], 3, v[4:5]
	v_lshlrev_b32_e32 v3, 3, v86
	v_and_b32_e32 v66, 0x3ffffe, v86
	s_mov_b32 s27, 0
	v_mov_b32_e32 v67, v2
	s_mov_b64 s[28:29], 0
	v_cmp_ne_u64_e64 s[2:3], 0, v[52:53]
	s_waitcnt vmcnt(0) lgkmcnt(0)
	v_cmp_ne_u64_e64 s[4:5], 0, v[12:13]
	v_cmp_ne_u32_e64 s[6:7], 64, v22
	v_cmp_ne_u32_sdwa s[40:41], v22, v30 src0_sel:DWORD src1_sel:WORD_0
	v_lshrrev_b32_e32 v80, 6, v22
	v_mov_b32_e32 v81, v2
	s_cselect_b64 s[42:43], -1, 0
	v_cmp_ne_u64_e64 s[10:11], 0, v[50:51]
	v_cmp_eq_u64_e64 s[12:13], 0, v[8:9]
	v_lshl_add_u64 v[8:9], v[10:11], 0, v[4:5]
	v_and_b32_e32 v86, 0x1fffff0, v3
	v_mov_b32_e32 v87, v2
	v_lshlrev_b64 v[96:97], 3, v[68:69]
	v_lshlrev_b64 v[98:99], 3, v[22:23]
	v_lshl_add_u64 v[100:101], v[0:1], 4, v[38:39]
	v_lshlrev_b64 v[102:103], 4, v[22:23]
	v_mov_b64_e32 v[112:113], 0
	s_mov_b64 s[44:45], 0x7ffffff8
	v_mov_b32_e32 v59, 1
	v_mov_b32_e32 v60, 0
	v_mov_b64_e32 v[54:55], 0
	s_branch .LBB0_24
.LBB0_23:                               ;   in Loop: Header=BB0_24 Depth=1
	s_or_b64 exec, exec, s[14:15]
	v_lshl_add_u64 v[112:113], v[112:113], 0, v[66:67]
	v_cmp_ge_u64_e32 vcc, v[112:113], v[6:7]
	v_lshl_add_u64 v[36:37], v[36:37], 0, 1
	s_or_b64 s[28:29], vcc, s[28:29]
	v_lshl_add_u64 v[8:9], v[8:9], 0, v[86:87]
	s_andn2_b64 exec, exec, s[28:29]
	s_cbranch_execz .LBB0_189
.LBB0_24:                               ; =>This Loop Header: Depth=1
                                        ;     Child Loop BB0_29 Depth 2
                                        ;     Child Loop BB0_48 Depth 2
	;; [unrolled: 1-line block ×5, first 2 shown]
                                        ;       Child Loop BB0_74 Depth 3
                                        ;       Child Loop BB0_93 Depth 3
	;; [unrolled: 1-line block ×3, first 2 shown]
                                        ;         Child Loop BB0_120 Depth 4
                                        ;       Child Loop BB0_135 Depth 3
                                        ;       Child Loop BB0_110 Depth 3
                                        ;     Child Loop BB0_151 Depth 2
                                        ;       Child Loop BB0_156 Depth 3
                                        ;     Child Loop BB0_177 Depth 2
	s_waitcnt vmcnt(0) lgkmcnt(0)
	flat_load_dword v3, v[70:71]
	v_sub_co_u32_e32 v4, vcc, v6, v112
	s_nop 1
	v_subb_co_u32_e32 v5, vcc, v7, v113, vcc
	v_cmp_lt_u64_e32 vcc, v[66:67], v[4:5]
	s_nop 1
	v_cndmask_b32_e32 v61, v4, v66, vcc
	s_and_saveexec_b64 s[16:17], s[2:3]
	s_cbranch_execz .LBB0_40
; %bb.25:                               ;   in Loop: Header=BB0_24 Depth=1
	v_lshl_add_u64 v[4:5], v[14:15], 0, 1
	v_lshl_add_u64 v[16:17], v[64:65], 0, 8
	v_cmp_lt_u64_e32 vcc, v[16:17], v[4:5]
	s_and_saveexec_b64 s[18:19], vcc
	s_cbranch_execz .LBB0_37
; %bb.26:                               ;   in Loop: Header=BB0_24 Depth=1
	s_mov_b32 s21, 0
	v_cmp_eq_u32_e32 vcc, 0, v60
	s_mov_b64 s[46:47], 0
                                        ; implicit-def: $sgpr56_sgpr57
                                        ; implicit-def: $sgpr58_sgpr59
                                        ; implicit-def: $sgpr60_sgpr61
	s_branch .LBB0_29
.LBB0_27:                               ;   in Loop: Header=BB0_29 Depth=2
	s_or_b64 exec, exec, s[78:79]
	s_andn2_b64 s[14:15], s[60:61], exec
	s_and_b64 s[60:61], s[74:75], exec
	s_or_b64 s[60:61], s[14:15], s[60:61]
	s_andn2_b64 s[14:15], s[58:59], exec
	s_and_b64 s[58:59], s[72:73], exec
	v_mov_b32_e32 v16, 0
	s_or_b64 s[58:59], s[14:15], s[58:59]
.LBB0_28:                               ;   in Loop: Header=BB0_29 Depth=2
	s_or_b64 exec, exec, s[62:63]
	s_and_b64 s[14:15], exec, s[58:59]
	s_or_b64 s[46:47], s[14:15], s[46:47]
	s_andn2_b64 s[14:15], s[56:57], exec
	s_and_b64 s[56:57], s[60:61], exec
	s_or_b64 s[56:57], s[14:15], s[56:57]
	s_andn2_b64 exec, exec, s[46:47]
	s_cbranch_execz .LBB0_34
.LBB0_29:                               ;   Parent Loop BB0_24 Depth=1
                                        ; =>  This Inner Loop Header: Depth=2
	s_sleep 1
	s_waitcnt vmcnt(0) lgkmcnt(0)
	flat_load_dwordx2 v[64:65], v[52:53] sc1
	s_or_b64 s[60:61], s[60:61], exec
	s_or_b64 s[58:59], s[58:59], exec
	v_mov_b32_e32 v16, v60
                                        ; implicit-def: $vgpr15
	s_and_saveexec_b64 s[62:63], vcc
	s_cbranch_execz .LBB0_28
; %bb.30:                               ;   in Loop: Header=BB0_29 Depth=2
	s_add_i32 s21, s21, 1
	s_cmpk_lg_i32 s21, 0x2710
	s_cselect_b64 s[76:77], -1, 0
	s_cmpk_eq_i32 s21, 0x2710
	s_mov_b64 s[72:73], -1
	s_mov_b64 s[74:75], -1
                                        ; implicit-def: $vgpr15
	s_cbranch_scc1 .LBB0_32
; %bb.31:                               ;   in Loop: Header=BB0_29 Depth=2
	s_and_saveexec_b64 s[78:79], s[76:77]
	s_cbranch_execz .LBB0_27
	s_branch .LBB0_33
.LBB0_32:                               ;   in Loop: Header=BB0_29 Depth=2
	s_trap 2
	ds_read_b64 v[16:17], v0
	s_andn2_b64 s[76:77], s[76:77], exec
	s_mov_b32 s21, 0
	s_mov_b64 s[74:75], 0
	s_waitcnt vmcnt(0) lgkmcnt(0)
	flat_load_dword v15, v[16:17] sc0 sc1
	s_waitcnt vmcnt(0) lgkmcnt(0)
	buffer_inv sc0 sc1
	v_cmp_eq_u32_e64 s[14:15], 0, v15
	s_and_b64 s[14:15], s[14:15], exec
	s_or_b64 s[76:77], s[76:77], s[14:15]
	s_and_saveexec_b64 s[78:79], s[76:77]
	s_cbranch_execz .LBB0_27
.LBB0_33:                               ;   in Loop: Header=BB0_29 Depth=2
	s_waitcnt vmcnt(0) lgkmcnt(0)
	v_lshl_add_u64 v[16:17], v[64:65], 0, 8
	v_cmp_ge_u64_e64 s[14:15], v[16:17], v[4:5]
	s_or_b64 s[74:75], s[74:75], exec
	s_orn2_b64 s[72:73], s[14:15], exec
	s_branch .LBB0_27
.LBB0_34:                               ;   in Loop: Header=BB0_24 Depth=1
	s_or_b64 exec, exec, s[46:47]
	s_xor_b64 s[14:15], s[56:57], -1
	s_and_saveexec_b64 s[46:47], s[14:15]
	s_xor_b64 s[14:15], exec, s[46:47]
	s_cbranch_execz .LBB0_36
; %bb.35:                               ;   in Loop: Header=BB0_24 Depth=1
	v_mov_b32_e32 v16, 1
	s_waitcnt lgkmcnt(0)
	ds_write_b32 v0, v15
	s_trap 2
.LBB0_36:                               ;   in Loop: Header=BB0_24 Depth=1
	s_or_b64 exec, exec, s[14:15]
	v_mov_b32_e32 v60, v16
.LBB0_37:                               ;   in Loop: Header=BB0_24 Depth=1
	s_or_b64 exec, exec, s[18:19]
	s_and_saveexec_b64 s[14:15], s[4:5]
	s_cbranch_execz .LBB0_39
; %bb.38:                               ;   in Loop: Header=BB0_24 Depth=1
	v_and_b32_e32 v16, 0x7ffffff8, v14
	v_mov_b32_e32 v17, v2
	v_cmp_eq_u64_e32 vcc, s[44:45], v[16:17]
	v_and_b32_e32 v14, 7, v14
	s_nop 0
	v_cndmask_b32_e32 v15, v61, v58, vcc
	v_lshlrev_b32_e32 v16, 4, v15
	v_ashrrev_i32_e32 v17, 31, v16
	v_mad_u64_u32 v[14:15], s[18:19], v14, 24, v[12:13]
	flat_store_dwordx2 v[14:15], v[16:17] offset:8 sc0 sc1
	s_waitcnt vmcnt(0)
.LBB0_39:                               ;   in Loop: Header=BB0_24 Depth=1
	s_or_b64 exec, exec, s[14:15]
	v_mov_b64_e32 v[14:15], v[4:5]
.LBB0_40:                               ;   in Loop: Header=BB0_24 Depth=1
	s_or_b64 exec, exec, s[16:17]
	s_and_saveexec_b64 s[14:15], s[6:7]
	s_cbranch_execz .LBB0_59
; %bb.41:                               ;   in Loop: Header=BB0_24 Depth=1
	s_and_saveexec_b64 s[16:17], s[40:41]
	s_xor_b64 s[16:17], exec, s[16:17]
	s_cbranch_execz .LBB0_56
; %bb.42:                               ;   in Loop: Header=BB0_24 Depth=1
	s_and_saveexec_b64 s[18:19], s[8:9]
	s_cbranch_execz .LBB0_55
; %bb.43:                               ;   in Loop: Header=BB0_24 Depth=1
	s_mov_b64 s[56:57], exec
	v_mbcnt_lo_u32_b32 v4, s56, 0
	v_mbcnt_hi_u32_b32 v4, s57, v4
	v_cmp_eq_u32_e32 vcc, 0, v4
	buffer_wbl2 sc1
	s_waitcnt vmcnt(0) lgkmcnt(0)
	buffer_inv sc1
	s_and_saveexec_b64 s[46:47], vcc
	s_cbranch_execz .LBB0_45
; %bb.44:                               ;   in Loop: Header=BB0_24 Depth=1
	s_bcnt1_i32_b64 s21, s[56:57]
	v_mov_b32_e32 v4, s21
	v_mov_b32_e32 v5, v2
	ds_add_u64 v0, v[4:5]
	s_trap 2
.LBB0_45:                               ;   in Loop: Header=BB0_24 Depth=1
	s_or_b64 exec, exec, s[46:47]
	s_trap 2
	ds_read_b64 v[4:5], v0
	s_waitcnt lgkmcnt(0)
	v_lshl_add_u64 v[54:55], v[54:55], 0, v[80:81]
	v_cmp_lt_u64_e32 vcc, v[4:5], v[54:55]
	s_and_saveexec_b64 s[46:47], vcc
	s_cbranch_execz .LBB0_54
; %bb.46:                               ;   in Loop: Header=BB0_24 Depth=1
	s_mov_b32 s21, 0
	s_mov_b64 s[56:57], 0
                                        ; implicit-def: $sgpr58_sgpr59
                                        ; implicit-def: $sgpr60_sgpr61
	s_branch .LBB0_48
.LBB0_47:                               ;   in Loop: Header=BB0_48 Depth=2
	s_or_b64 exec, exec, s[72:73]
	s_and_b64 s[62:63], exec, s[74:75]
	s_or_b64 s[56:57], s[62:63], s[56:57]
	s_andn2_b64 s[58:59], s[58:59], exec
	s_and_b64 s[62:63], s[60:61], exec
	s_or_b64 s[58:59], s[58:59], s[62:63]
	s_andn2_b64 exec, exec, s[56:57]
	s_cbranch_execz .LBB0_52
.LBB0_48:                               ;   Parent Loop BB0_24 Depth=1
                                        ; =>  This Inner Loop Header: Depth=2
	s_add_i32 s21, s21, 1
	s_cmpk_lg_i32 s21, 0x2710
	s_cselect_b64 s[62:63], -1, 0
	s_and_b64 vcc, exec, s[62:63]
	s_cbranch_vccz .LBB0_50
; %bb.49:                               ;   in Loop: Header=BB0_48 Depth=2
	s_mov_b64 s[74:75], -1
	s_or_b64 s[60:61], s[60:61], exec
	s_and_saveexec_b64 s[72:73], s[62:63]
	s_cbranch_execz .LBB0_47
	s_branch .LBB0_51
.LBB0_50:                               ;   in Loop: Header=BB0_48 Depth=2
	s_trap 2
	ds_read_b64 v[4:5], v0
	s_andn2_b64 s[62:63], s[62:63], exec
	s_mov_b32 s21, 0
	s_waitcnt lgkmcnt(0)
	flat_load_dword v4, v[4:5] sc0 sc1
	s_waitcnt vmcnt(0) lgkmcnt(0)
	buffer_inv sc0 sc1
	v_cmp_eq_u32_e32 vcc, 0, v4
	s_and_b64 s[72:73], vcc, exec
	s_or_b64 s[62:63], s[62:63], s[72:73]
	s_mov_b64 s[74:75], -1
	s_or_b64 s[60:61], s[60:61], exec
	s_and_saveexec_b64 s[72:73], s[62:63]
	s_cbranch_execz .LBB0_47
.LBB0_51:                               ;   in Loop: Header=BB0_48 Depth=2
	s_sleep 1
	s_trap 2
	ds_read_b64 v[4:5], v0
	s_waitcnt lgkmcnt(0)
	s_andn2_b64 s[60:61], s[60:61], exec
	v_cmp_ge_u64_e32 vcc, v[4:5], v[54:55]
	s_orn2_b64 s[74:75], vcc, exec
	s_branch .LBB0_47
.LBB0_52:                               ;   in Loop: Header=BB0_24 Depth=1
	s_or_b64 exec, exec, s[56:57]
	s_and_saveexec_b64 s[56:57], s[58:59]
	s_xor_b64 s[56:57], exec, s[56:57]
	s_cbranch_execz .LBB0_54
; %bb.53:                               ;   in Loop: Header=BB0_24 Depth=1
	ds_write_b32 v0, v59
	s_trap 2
.LBB0_54:                               ;   in Loop: Header=BB0_24 Depth=1
	s_or_b64 exec, exec, s[46:47]
	;;#ASMSTART
	s_wakeup
	;;#ASMEND
.LBB0_55:                               ;   in Loop: Header=BB0_24 Depth=1
	s_or_b64 exec, exec, s[18:19]
.LBB0_56:                               ;   in Loop: Header=BB0_24 Depth=1
	s_andn2_saveexec_b64 s[16:17], s[16:17]
	s_cbranch_execz .LBB0_58
; %bb.57:                               ;   in Loop: Header=BB0_24 Depth=1
	buffer_wbl2 sc1
	s_waitcnt vmcnt(0) lgkmcnt(0)
	buffer_inv sc1
	s_barrier
.LBB0_58:                               ;   in Loop: Header=BB0_24 Depth=1
	s_or_b64 exec, exec, s[16:17]
.LBB0_59:                               ;   in Loop: Header=BB0_24 Depth=1
	s_or_b64 exec, exec, s[14:15]
	v_sub_u32_e32 v62, v61, v0
	v_cmp_lt_i32_e64 s[14:15], 0, v62
	v_and_b32_e32 v115, 7, v20
	v_add_u32_e32 v17, 1, v20
	v_mov_b32_e32 v114, v0
	s_and_saveexec_b64 s[16:17], s[14:15]
	s_cbranch_execz .LBB0_63
; %bb.60:                               ;   in Loop: Header=BB0_24 Depth=1
	s_waitcnt vmcnt(0) lgkmcnt(0)
	v_ashrrev_i32_e32 v16, 31, v3
	v_mul_lo_u32 v18, v115, v58
	v_ashrrev_i32_e32 v19, 31, v18
	v_mad_u64_u32 v[4:5], s[18:19], v96, v3, v[8:9]
	v_mul_lo_u32 v3, v97, v3
	v_mul_lo_u32 v16, v96, v16
	v_add3_u32 v5, v3, v5, v16
	v_lshl_add_u64 v[116:117], v[18:19], 4, v[100:101]
	s_mov_b64 s[18:19], 0
	v_mov_b32_e32 v3, v62
	v_mov_b32_e32 v114, v0
.LBB0_61:                               ;   Parent Loop BB0_24 Depth=1
                                        ; =>  This Inner Loop Header: Depth=2
	global_load_dwordx2 v[118:119], v[4:5], off nt
	v_sub_u32_e32 v3, v3, v22
	v_mov_b32_e32 v19, v17
	v_cmp_gt_i32_e32 vcc, 1, v3
	v_add_u32_e32 v114, v114, v22
	v_lshl_add_u64 v[4:5], v[4:5], 0, v[98:99]
	s_or_b64 s[18:19], vcc, s[18:19]
	s_waitcnt vmcnt(0)
	v_mov_b32_e32 v16, v118
	v_mov_b32_e32 v18, v119
	global_store_dwordx4 v[116:117], v[16:19], off
	v_lshl_add_u64 v[116:117], v[116:117], 0, v[102:103]
	buffer_wbl2 sc0 sc1
	s_waitcnt vmcnt(0)
	s_andn2_b64 exec, exec, s[18:19]
	s_cbranch_execnz .LBB0_61
; %bb.62:                               ;   in Loop: Header=BB0_24 Depth=1
	s_or_b64 exec, exec, s[18:19]
.LBB0_63:                               ;   in Loop: Header=BB0_24 Depth=1
	s_or_b64 exec, exec, s[16:17]
	v_and_b32_e32 v4, 0x7ffffff8, v20
	v_mov_b32_e32 v5, v2
	v_cmp_eq_u64_e32 vcc, s[44:45], v[4:5]
	v_cmp_lt_i32_e64 s[16:17], v114, v58
	s_and_b64 s[18:19], vcc, s[16:17]
	s_and_saveexec_b64 s[16:17], s[18:19]
	s_cbranch_execz .LBB0_66
; %bb.64:                               ;   in Loop: Header=BB0_24 Depth=1
	v_mul_lo_u32 v4, v115, v58
	v_ashrrev_i32_e32 v5, 31, v4
	v_ashrrev_i32_e32 v115, 31, v114
	v_lshlrev_b64 v[4:5], 4, v[4:5]
	v_lshl_add_u64 v[4:5], v[114:115], 4, v[4:5]
	s_waitcnt vmcnt(0) lgkmcnt(0)
	v_mov_b32_e32 v3, v17
	v_lshl_add_u64 v[16:17], v[38:39], 0, v[4:5]
	s_mov_b64 s[18:19], 0
.LBB0_65:                               ;   Parent Loop BB0_24 Depth=1
                                        ; =>  This Inner Loop Header: Depth=2
	v_add_u32_e32 v114, v114, v22
	v_mov_b32_e32 v4, v2
	v_mov_b32_e32 v5, v3
	v_cmp_ge_i32_e32 vcc, v114, v58
	global_store_dwordx4 v[16:17], v[2:5], off
	s_or_b64 s[18:19], vcc, s[18:19]
	v_lshl_add_u64 v[16:17], v[16:17], 0, v[102:103]
	buffer_wbl2 sc0 sc1
	s_waitcnt vmcnt(0)
	s_andn2_b64 exec, exec, s[18:19]
	s_cbranch_execnz .LBB0_65
.LBB0_66:                               ;   in Loop: Header=BB0_24 Depth=1
	s_or_b64 exec, exec, s[16:17]
	v_lshl_add_u64 v[114:115], v[112:113], 0, v[26:27]
	s_andn2_b64 vcc, exec, s[42:43]
	v_lshl_add_u64 v[116:117], v[20:21], 0, 1
	s_cbranch_vccnz .LBB0_146
; %bb.67:                               ;   in Loop: Header=BB0_24 Depth=1
	v_lshl_add_u64 v[118:119], v[114:115], 3, v[82:83]
	v_add_u16_e32 v63, 1, v20
	s_mov_b32 s21, 2
	s_branch .LBB0_69
.LBB0_68:                               ;   in Loop: Header=BB0_69 Depth=2
	s_or_b64 exec, exec, s[16:17]
	s_add_i32 s21, s21, 1
	v_lshl_add_u64 v[36:37], v[36:37], 0, 1
	v_lshl_add_u64 v[116:117], v[116:117], 0, 1
	s_cmp_eq_u32 s21, s20
	v_add_u16_e32 v63, 1, v63
	s_cbranch_scc1 .LBB0_146
.LBB0_69:                               ;   Parent Loop BB0_24 Depth=1
                                        ; =>  This Loop Header: Depth=2
                                        ;       Child Loop BB0_74 Depth 3
                                        ;       Child Loop BB0_93 Depth 3
	;; [unrolled: 1-line block ×3, first 2 shown]
                                        ;         Child Loop BB0_120 Depth 4
                                        ;       Child Loop BB0_135 Depth 3
                                        ;       Child Loop BB0_110 Depth 3
	s_sub_i32 s26, s20, s21
	s_lshl_b64 s[16:17], s[26:27], 2
	v_lshl_add_u64 v[4:5], v[24:25], 0, s[16:17]
	s_waitcnt vmcnt(0) lgkmcnt(0)
	flat_load_dword v3, v[4:5]
	s_and_saveexec_b64 s[18:19], s[2:3]
	s_cbranch_execz .LBB0_85
; %bb.70:                               ;   in Loop: Header=BB0_69 Depth=2
	v_lshl_add_u64 v[4:5], v[14:15], 0, 1
	v_lshl_add_u64 v[16:17], v[64:65], 0, 8
	v_cmp_lt_u64_e32 vcc, v[16:17], v[4:5]
	s_and_saveexec_b64 s[46:47], vcc
	s_cbranch_execz .LBB0_82
; %bb.71:                               ;   in Loop: Header=BB0_69 Depth=2
	s_mov_b32 s26, 0
	v_cmp_eq_u32_e32 vcc, 0, v60
	s_mov_b64 s[56:57], 0
                                        ; implicit-def: $sgpr58_sgpr59
                                        ; implicit-def: $sgpr60_sgpr61
                                        ; implicit-def: $sgpr62_sgpr63
	s_branch .LBB0_74
.LBB0_72:                               ;   in Loop: Header=BB0_74 Depth=3
	s_or_b64 exec, exec, s[88:89]
	s_andn2_b64 s[16:17], s[62:63], exec
	s_and_b64 s[62:63], s[76:77], exec
	s_or_b64 s[62:63], s[16:17], s[62:63]
	s_andn2_b64 s[16:17], s[60:61], exec
	s_and_b64 s[60:61], s[74:75], exec
	v_mov_b32_e32 v16, 0
	s_or_b64 s[60:61], s[16:17], s[60:61]
.LBB0_73:                               ;   in Loop: Header=BB0_74 Depth=3
	s_or_b64 exec, exec, s[72:73]
	s_and_b64 s[16:17], exec, s[60:61]
	s_or_b64 s[56:57], s[16:17], s[56:57]
	s_andn2_b64 s[16:17], s[58:59], exec
	s_and_b64 s[58:59], s[62:63], exec
	s_or_b64 s[58:59], s[16:17], s[58:59]
	s_andn2_b64 exec, exec, s[56:57]
	s_cbranch_execz .LBB0_79
.LBB0_74:                               ;   Parent Loop BB0_24 Depth=1
                                        ;     Parent Loop BB0_69 Depth=2
                                        ; =>    This Inner Loop Header: Depth=3
	s_sleep 1
	s_waitcnt vmcnt(0) lgkmcnt(0)
	flat_load_dwordx2 v[64:65], v[52:53] sc1
	s_or_b64 s[62:63], s[62:63], exec
	s_or_b64 s[60:61], s[60:61], exec
	v_mov_b32_e32 v16, v60
                                        ; implicit-def: $vgpr15
	s_and_saveexec_b64 s[72:73], vcc
	s_cbranch_execz .LBB0_73
; %bb.75:                               ;   in Loop: Header=BB0_74 Depth=3
	s_add_i32 s26, s26, 1
	s_cmpk_lg_i32 s26, 0x2710
	s_cselect_b64 s[78:79], -1, 0
	s_cmpk_eq_i32 s26, 0x2710
	s_mov_b64 s[74:75], -1
	s_mov_b64 s[76:77], -1
                                        ; implicit-def: $vgpr15
	s_cbranch_scc1 .LBB0_77
; %bb.76:                               ;   in Loop: Header=BB0_74 Depth=3
	s_and_saveexec_b64 s[88:89], s[78:79]
	s_cbranch_execz .LBB0_72
	s_branch .LBB0_78
.LBB0_77:                               ;   in Loop: Header=BB0_74 Depth=3
	s_trap 2
	ds_read_b64 v[16:17], v0
	s_andn2_b64 s[78:79], s[78:79], exec
	s_mov_b32 s26, 0
	s_mov_b64 s[76:77], 0
	s_waitcnt vmcnt(0) lgkmcnt(0)
	flat_load_dword v15, v[16:17] sc0 sc1
	s_waitcnt vmcnt(0) lgkmcnt(0)
	buffer_inv sc0 sc1
	v_cmp_eq_u32_e64 s[16:17], 0, v15
	s_and_b64 s[16:17], s[16:17], exec
	s_or_b64 s[78:79], s[78:79], s[16:17]
	s_and_saveexec_b64 s[88:89], s[78:79]
	s_cbranch_execz .LBB0_72
.LBB0_78:                               ;   in Loop: Header=BB0_74 Depth=3
	s_waitcnt vmcnt(0) lgkmcnt(0)
	v_lshl_add_u64 v[16:17], v[64:65], 0, 8
	v_cmp_ge_u64_e64 s[16:17], v[16:17], v[4:5]
	s_or_b64 s[76:77], s[76:77], exec
	s_orn2_b64 s[74:75], s[16:17], exec
	s_branch .LBB0_72
.LBB0_79:                               ;   in Loop: Header=BB0_69 Depth=2
	s_or_b64 exec, exec, s[56:57]
	s_xor_b64 s[16:17], s[58:59], -1
	s_and_saveexec_b64 s[56:57], s[16:17]
	s_xor_b64 s[16:17], exec, s[56:57]
	s_cbranch_execz .LBB0_81
; %bb.80:                               ;   in Loop: Header=BB0_69 Depth=2
	v_mov_b32_e32 v16, 1
	s_waitcnt lgkmcnt(0)
	ds_write_b32 v0, v15
	s_trap 2
.LBB0_81:                               ;   in Loop: Header=BB0_69 Depth=2
	s_or_b64 exec, exec, s[16:17]
	v_mov_b32_e32 v60, v16
.LBB0_82:                               ;   in Loop: Header=BB0_69 Depth=2
	s_or_b64 exec, exec, s[46:47]
	s_and_saveexec_b64 s[16:17], s[4:5]
	s_cbranch_execz .LBB0_84
; %bb.83:                               ;   in Loop: Header=BB0_69 Depth=2
	v_and_b32_e32 v16, 0x7ffffff8, v14
	v_mov_b32_e32 v17, v2
	v_cmp_eq_u64_e32 vcc, s[44:45], v[16:17]
	v_and_b32_e32 v14, 7, v14
	s_nop 0
	v_cndmask_b32_e32 v15, v61, v58, vcc
	v_lshlrev_b32_e32 v16, 4, v15
	v_ashrrev_i32_e32 v17, 31, v16
	v_mad_u64_u32 v[14:15], s[46:47], v14, 24, v[12:13]
	flat_store_dwordx2 v[14:15], v[16:17] offset:8 sc0 sc1
	s_waitcnt vmcnt(0)
.LBB0_84:                               ;   in Loop: Header=BB0_69 Depth=2
	s_or_b64 exec, exec, s[16:17]
	v_mov_b64_e32 v[14:15], v[4:5]
.LBB0_85:                               ;   in Loop: Header=BB0_69 Depth=2
	s_or_b64 exec, exec, s[18:19]
	s_and_saveexec_b64 s[16:17], s[6:7]
	s_cbranch_execz .LBB0_104
; %bb.86:                               ;   in Loop: Header=BB0_69 Depth=2
	s_and_saveexec_b64 s[18:19], s[40:41]
	s_xor_b64 s[18:19], exec, s[18:19]
	s_cbranch_execz .LBB0_101
; %bb.87:                               ;   in Loop: Header=BB0_69 Depth=2
	s_and_saveexec_b64 s[46:47], s[8:9]
	s_cbranch_execz .LBB0_100
; %bb.88:                               ;   in Loop: Header=BB0_69 Depth=2
	s_mov_b64 s[58:59], exec
	v_mbcnt_lo_u32_b32 v4, s58, 0
	v_mbcnt_hi_u32_b32 v4, s59, v4
	v_cmp_eq_u32_e32 vcc, 0, v4
	buffer_wbl2 sc1
	s_waitcnt vmcnt(0) lgkmcnt(0)
	buffer_inv sc1
	s_and_saveexec_b64 s[56:57], vcc
	s_cbranch_execz .LBB0_90
; %bb.89:                               ;   in Loop: Header=BB0_69 Depth=2
	s_bcnt1_i32_b64 s26, s[58:59]
	v_mov_b32_e32 v4, s26
	v_mov_b32_e32 v5, v2
	ds_add_u64 v0, v[4:5]
	s_trap 2
.LBB0_90:                               ;   in Loop: Header=BB0_69 Depth=2
	s_or_b64 exec, exec, s[56:57]
	s_trap 2
	ds_read_b64 v[4:5], v0
	s_waitcnt lgkmcnt(0)
	v_lshl_add_u64 v[54:55], v[54:55], 0, v[80:81]
	v_cmp_lt_u64_e32 vcc, v[4:5], v[54:55]
	s_and_saveexec_b64 s[56:57], vcc
	s_cbranch_execz .LBB0_99
; %bb.91:                               ;   in Loop: Header=BB0_69 Depth=2
	s_mov_b32 s26, 0
	s_mov_b64 s[58:59], 0
                                        ; implicit-def: $sgpr60_sgpr61
                                        ; implicit-def: $sgpr62_sgpr63
	s_branch .LBB0_93
.LBB0_92:                               ;   in Loop: Header=BB0_93 Depth=3
	s_or_b64 exec, exec, s[74:75]
	s_and_b64 s[72:73], exec, s[76:77]
	s_or_b64 s[58:59], s[72:73], s[58:59]
	s_andn2_b64 s[60:61], s[60:61], exec
	s_and_b64 s[72:73], s[62:63], exec
	s_or_b64 s[60:61], s[60:61], s[72:73]
	s_andn2_b64 exec, exec, s[58:59]
	s_cbranch_execz .LBB0_97
.LBB0_93:                               ;   Parent Loop BB0_24 Depth=1
                                        ;     Parent Loop BB0_69 Depth=2
                                        ; =>    This Inner Loop Header: Depth=3
	s_add_i32 s26, s26, 1
	s_cmpk_lg_i32 s26, 0x2710
	s_cselect_b64 s[72:73], -1, 0
	s_and_b64 vcc, exec, s[72:73]
	s_cbranch_vccz .LBB0_95
; %bb.94:                               ;   in Loop: Header=BB0_93 Depth=3
	s_mov_b64 s[76:77], -1
	s_or_b64 s[62:63], s[62:63], exec
	s_and_saveexec_b64 s[74:75], s[72:73]
	s_cbranch_execz .LBB0_92
	s_branch .LBB0_96
.LBB0_95:                               ;   in Loop: Header=BB0_93 Depth=3
	s_trap 2
	ds_read_b64 v[4:5], v0
	s_andn2_b64 s[72:73], s[72:73], exec
	s_mov_b32 s26, 0
	s_waitcnt lgkmcnt(0)
	flat_load_dword v4, v[4:5] sc0 sc1
	s_waitcnt vmcnt(0) lgkmcnt(0)
	buffer_inv sc0 sc1
	v_cmp_eq_u32_e32 vcc, 0, v4
	s_and_b64 s[74:75], vcc, exec
	s_or_b64 s[72:73], s[72:73], s[74:75]
	s_mov_b64 s[76:77], -1
	s_or_b64 s[62:63], s[62:63], exec
	s_and_saveexec_b64 s[74:75], s[72:73]
	s_cbranch_execz .LBB0_92
.LBB0_96:                               ;   in Loop: Header=BB0_93 Depth=3
	s_sleep 1
	s_trap 2
	ds_read_b64 v[4:5], v0
	s_waitcnt lgkmcnt(0)
	s_andn2_b64 s[62:63], s[62:63], exec
	v_cmp_ge_u64_e32 vcc, v[4:5], v[54:55]
	s_orn2_b64 s[76:77], vcc, exec
	s_branch .LBB0_92
.LBB0_97:                               ;   in Loop: Header=BB0_69 Depth=2
	s_or_b64 exec, exec, s[58:59]
	s_and_saveexec_b64 s[58:59], s[60:61]
	s_xor_b64 s[58:59], exec, s[58:59]
	s_cbranch_execz .LBB0_99
; %bb.98:                               ;   in Loop: Header=BB0_69 Depth=2
	ds_write_b32 v0, v59
	s_trap 2
.LBB0_99:                               ;   in Loop: Header=BB0_69 Depth=2
	s_or_b64 exec, exec, s[56:57]
	;;#ASMSTART
	s_wakeup
	;;#ASMEND
.LBB0_100:                              ;   in Loop: Header=BB0_69 Depth=2
	s_or_b64 exec, exec, s[46:47]
.LBB0_101:                              ;   in Loop: Header=BB0_69 Depth=2
	s_andn2_saveexec_b64 s[18:19], s[18:19]
	s_cbranch_execz .LBB0_103
; %bb.102:                              ;   in Loop: Header=BB0_69 Depth=2
	buffer_wbl2 sc1
	s_waitcnt vmcnt(0) lgkmcnt(0)
	buffer_inv sc1
	s_barrier
.LBB0_103:                              ;   in Loop: Header=BB0_69 Depth=2
	s_or_b64 exec, exec, s[18:19]
.LBB0_104:                              ;   in Loop: Header=BB0_69 Depth=2
	s_or_b64 exec, exec, s[16:17]
	v_add_u32_e32 v17, 1, v116
	v_mov_b32_e32 v40, v0
	s_and_saveexec_b64 s[46:47], s[14:15]
	s_cbranch_execnz .LBB0_111
; %bb.105:                              ;   in Loop: Header=BB0_69 Depth=2
	s_or_b64 exec, exec, s[46:47]
	s_and_saveexec_b64 s[16:17], s[6:7]
	s_cbranch_execnz .LBB0_128
.LBB0_106:                              ;   in Loop: Header=BB0_69 Depth=2
	s_or_b64 exec, exec, s[16:17]
	s_and_saveexec_b64 s[16:17], s[10:11]
	s_cbranch_execz .LBB0_108
.LBB0_107:                              ;   in Loop: Header=BB0_69 Depth=2
	v_lshl_add_u64 v[48:49], v[48:49], 0, 1
	flat_store_dwordx2 v[50:51], v[48:49] sc0 sc1
.LBB0_108:                              ;   in Loop: Header=BB0_69 Depth=2
	s_or_b64 exec, exec, s[16:17]
	v_and_b32_e32 v4, 0x7ffffff8, v116
	v_mov_b32_e32 v5, v2
	v_cmp_eq_u64_e32 vcc, s[44:45], v[4:5]
	v_cmp_lt_i32_e64 s[16:17], v40, v58
	s_and_b64 s[18:19], vcc, s[16:17]
	s_and_saveexec_b64 s[16:17], s[18:19]
	s_cbranch_execz .LBB0_68
; %bb.109:                              ;   in Loop: Header=BB0_69 Depth=2
	s_waitcnt vmcnt(0) lgkmcnt(0)
	v_and_b32_e32 v3, 7, v63
	v_mul_lo_u32 v4, v58, v3
	v_ashrrev_i32_e32 v5, 31, v4
	v_lshlrev_b64 v[4:5], 4, v[4:5]
	v_ashrrev_i32_e32 v41, 31, v40
	v_lshl_add_u64 v[4:5], v[40:41], 4, v[4:5]
	v_mov_b32_e32 v3, v17
	v_lshl_add_u64 v[16:17], v[38:39], 0, v[4:5]
	s_mov_b64 s[18:19], 0
.LBB0_110:                              ;   Parent Loop BB0_24 Depth=1
                                        ;     Parent Loop BB0_69 Depth=2
                                        ; =>    This Inner Loop Header: Depth=3
	v_add_u32_e32 v40, v40, v22
	v_mov_b32_e32 v4, v2
	v_mov_b32_e32 v5, v3
	v_cmp_ge_i32_e32 vcc, v40, v58
	global_store_dwordx4 v[16:17], v[2:5], off
	s_or_b64 s[18:19], vcc, s[18:19]
	v_lshl_add_u64 v[16:17], v[16:17], 0, v[102:103]
	buffer_wbl2 sc0 sc1
	s_waitcnt vmcnt(0)
	s_andn2_b64 exec, exec, s[18:19]
	s_cbranch_execnz .LBB0_110
	s_branch .LBB0_68
.LBB0_111:                              ;   in Loop: Header=BB0_69 Depth=2
	s_waitcnt vmcnt(0) lgkmcnt(0)
	v_ashrrev_i32_e32 v4, 31, v3
	v_mul_lo_u32 v16, v69, v3
	v_mul_lo_u32 v18, v68, v4
	v_mad_u64_u32 v[4:5], s[16:17], v68, v3, 0
	v_and_b32_e32 v3, 7, v36
	v_add3_u32 v5, v5, v18, v16
	v_mul_lo_u32 v18, v3, v58
	v_ashrrev_i32_e32 v19, 31, v18
	v_and_b32_e32 v16, 7, v116
	v_lshl_add_u64 v[42:43], v[18:19], 4, v[34:35]
	v_mul_lo_u32 v18, v16, v58
	v_ashrrev_i32_e32 v19, 31, v18
	v_lshl_add_u64 v[4:5], v[4:5], 3, v[118:119]
	v_add_u32_e32 v3, 1, v36
	v_lshl_add_u64 v[44:45], v[18:19], 4, v[38:39]
	s_mov_b64 s[56:57], 0
	v_mov_b32_e32 v73, v60
	v_mov_b32_e32 v72, v62
	;; [unrolled: 1-line block ×3, first 2 shown]
	s_branch .LBB0_115
.LBB0_112:                              ;   in Loop: Header=BB0_115 Depth=3
	s_or_b64 exec, exec, s[16:17]
.LBB0_113:                              ;   in Loop: Header=BB0_115 Depth=3
	s_or_b64 exec, exec, s[60:61]
.LBB0_114:                              ;   in Loop: Header=BB0_115 Depth=3
	s_or_b64 exec, exec, s[58:59]
	s_waitcnt vmcnt(0)
	v_mov_b32_e32 v19, v20
	v_sub_u32_e32 v72, v72, v22
	v_mul_f64 v[18:19], v[46:47], v[18:19]
	v_cmp_gt_i32_e32 vcc, 1, v72
	v_lshl_add_u64 v[4:5], v[22:23], 3, v[4:5]
	v_lshl_add_u64 v[20:21], v[40:41], 4, v[44:45]
	v_mov_b32_e32 v16, v18
	v_mov_b32_e32 v18, v19
	;; [unrolled: 1-line block ×3, first 2 shown]
	s_or_b64 s[56:57], vcc, s[56:57]
	v_add_u32_e32 v40, v40, v22
	global_store_dwordx4 v[20:21], v[16:19], off
	buffer_wbl2 sc0 sc1
	s_waitcnt vmcnt(0) lgkmcnt(0)
	s_andn2_b64 exec, exec, s[56:57]
	s_cbranch_execz .LBB0_127
.LBB0_115:                              ;   Parent Loop BB0_24 Depth=1
                                        ;     Parent Loop BB0_69 Depth=2
                                        ; =>    This Loop Header: Depth=3
                                        ;         Child Loop BB0_120 Depth 4
	v_ashrrev_i32_e32 v41, 31, v40
	v_lshl_add_u64 v[56:57], v[40:41], 4, v[42:43]
	global_load_dwordx2 v[46:47], v[4:5], off nt
	global_load_dwordx4 v[18:21], v[56:57], off nt
	v_cmp_eq_u32_e32 vcc, 0, v73
	s_and_saveexec_b64 s[58:59], vcc
	s_cbranch_execz .LBB0_114
; %bb.116:                              ;   in Loop: Header=BB0_115 Depth=3
	s_waitcnt vmcnt(0)
	v_cmp_ne_u32_e32 vcc, v3, v19
	v_cmp_ne_u32_e64 s[16:17], v3, v21
	s_or_b64 s[16:17], vcc, s[16:17]
	v_mov_b32_e32 v73, 0
	s_and_saveexec_b64 s[60:61], s[16:17]
	s_cbranch_execz .LBB0_113
; %bb.117:                              ;   in Loop: Header=BB0_115 Depth=3
	v_mov_b32_e32 v73, 0
	v_cmp_eq_u32_e64 s[16:17], 0, v60
	s_mov_b32 s26, 1
	s_mov_b64 s[72:73], 0
                                        ; implicit-def: $sgpr62_sgpr63
                                        ; implicit-def: $sgpr74_sgpr75
	s_branch .LBB0_120
.LBB0_118:                              ;   in Loop: Header=BB0_120 Depth=4
	s_or_b64 exec, exec, s[76:77]
	s_andn2_b64 s[74:75], s[74:75], exec
	s_orn2_b64 s[18:19], s[18:19], exec
.LBB0_119:                              ;   in Loop: Header=BB0_120 Depth=4
	s_or_b64 exec, exec, s[88:89]
	s_and_b64 s[18:19], exec, s[18:19]
	s_or_b64 s[72:73], s[18:19], s[72:73]
	s_andn2_b64 s[18:19], s[62:63], exec
	s_and_b64 s[62:63], s[74:75], exec
	s_or_b64 s[62:63], s[18:19], s[62:63]
	s_andn2_b64 exec, exec, s[72:73]
	s_cbranch_execz .LBB0_125
.LBB0_120:                              ;   Parent Loop BB0_24 Depth=1
                                        ;     Parent Loop BB0_69 Depth=2
                                        ;       Parent Loop BB0_115 Depth=3
                                        ; =>      This Inner Loop Header: Depth=4
	global_load_dwordx4 v[18:21], v[56:57], off nt
	s_add_i32 s26, s26, 1
	s_cmpk_lg_i32 s26, 0x2710
	s_cselect_b64 s[76:77], -1, 0
	s_mov_b64 s[18:19], -1
	s_and_b64 vcc, exec, s[76:77]
	s_mov_b64 s[78:79], -1
                                        ; implicit-def: $vgpr16
	s_cbranch_vccz .LBB0_122
; %bb.121:                              ;   in Loop: Header=BB0_120 Depth=4
	s_or_b64 s[74:75], s[74:75], exec
	s_and_saveexec_b64 s[88:89], s[76:77]
	s_cbranch_execz .LBB0_119
	s_branch .LBB0_123
.LBB0_122:                              ;   in Loop: Header=BB0_120 Depth=4
	s_trap 2
	ds_read_b64 v[74:75], v0
	s_andn2_b64 s[76:77], s[76:77], exec
	s_mov_b32 s26, 0
	s_orn2_b64 s[78:79], s[16:17], exec
	v_mov_b32_e32 v73, v60
	s_waitcnt vmcnt(0) lgkmcnt(0)
	flat_load_dword v16, v[74:75] sc0 sc1
	s_waitcnt vmcnt(0) lgkmcnt(0)
	buffer_inv sc0 sc1
	v_cmp_eq_u32_e32 vcc, 0, v16
	s_and_b64 s[88:89], vcc, exec
	s_or_b64 s[76:77], s[76:77], s[88:89]
	s_or_b64 s[74:75], s[74:75], exec
	s_and_saveexec_b64 s[88:89], s[76:77]
	s_cbranch_execz .LBB0_119
.LBB0_123:                              ;   in Loop: Header=BB0_120 Depth=4
	s_and_saveexec_b64 s[76:77], s[78:79]
	s_cbranch_execz .LBB0_118
; %bb.124:                              ;   in Loop: Header=BB0_120 Depth=4
	s_waitcnt vmcnt(0)
	v_cmp_eq_u32_e32 vcc, v3, v19
	v_cmp_eq_u32_e64 s[18:19], v3, v21
	s_and_b64 s[18:19], vcc, s[18:19]
	s_orn2_b64 s[18:19], s[18:19], exec
	s_branch .LBB0_118
.LBB0_125:                              ;   in Loop: Header=BB0_115 Depth=3
	s_or_b64 exec, exec, s[72:73]
	s_and_saveexec_b64 s[16:17], s[62:63]
	s_xor_b64 s[16:17], exec, s[16:17]
	s_cbranch_execz .LBB0_112
; %bb.126:                              ;   in Loop: Header=BB0_115 Depth=3
	v_or_b32_e32 v73, 1, v60
	v_mov_b32_e32 v60, v73
	ds_write_b32 v0, v16
	s_trap 2
	s_branch .LBB0_112
.LBB0_127:                              ;   in Loop: Header=BB0_69 Depth=2
	s_or_b64 exec, exec, s[56:57]
	s_or_b64 exec, exec, s[46:47]
	s_and_saveexec_b64 s[16:17], s[6:7]
	s_cbranch_execz .LBB0_106
.LBB0_128:                              ;   in Loop: Header=BB0_69 Depth=2
	s_and_saveexec_b64 s[18:19], s[40:41]
	s_xor_b64 s[18:19], exec, s[18:19]
	s_cbranch_execz .LBB0_143
; %bb.129:                              ;   in Loop: Header=BB0_69 Depth=2
	s_and_saveexec_b64 s[46:47], s[8:9]
	s_cbranch_execz .LBB0_142
; %bb.130:                              ;   in Loop: Header=BB0_69 Depth=2
	s_mov_b64 s[58:59], exec
	s_waitcnt vmcnt(0) lgkmcnt(0)
	v_mbcnt_lo_u32_b32 v3, s58, 0
	v_mbcnt_hi_u32_b32 v3, s59, v3
	v_cmp_eq_u32_e32 vcc, 0, v3
	buffer_wbl2 sc1
	buffer_inv sc1
	s_and_saveexec_b64 s[56:57], vcc
	s_cbranch_execz .LBB0_132
; %bb.131:                              ;   in Loop: Header=BB0_69 Depth=2
	s_bcnt1_i32_b64 s26, s[58:59]
	v_mov_b32_e32 v4, s26
	v_mov_b32_e32 v5, v2
	ds_add_u64 v0, v[4:5]
	s_trap 2
.LBB0_132:                              ;   in Loop: Header=BB0_69 Depth=2
	s_or_b64 exec, exec, s[56:57]
	s_trap 2
	ds_read_b64 v[4:5], v0
	s_waitcnt lgkmcnt(0)
	v_lshl_add_u64 v[54:55], v[54:55], 0, v[80:81]
	v_cmp_lt_u64_e32 vcc, v[4:5], v[54:55]
	s_and_saveexec_b64 s[56:57], vcc
	s_cbranch_execz .LBB0_141
; %bb.133:                              ;   in Loop: Header=BB0_69 Depth=2
	s_mov_b32 s26, 0
	s_mov_b64 s[58:59], 0
                                        ; implicit-def: $sgpr60_sgpr61
                                        ; implicit-def: $sgpr62_sgpr63
	s_branch .LBB0_135
.LBB0_134:                              ;   in Loop: Header=BB0_135 Depth=3
	s_or_b64 exec, exec, s[74:75]
	s_and_b64 s[72:73], exec, s[76:77]
	s_or_b64 s[58:59], s[72:73], s[58:59]
	s_andn2_b64 s[60:61], s[60:61], exec
	s_and_b64 s[72:73], s[62:63], exec
	s_or_b64 s[60:61], s[60:61], s[72:73]
	s_andn2_b64 exec, exec, s[58:59]
	s_cbranch_execz .LBB0_139
.LBB0_135:                              ;   Parent Loop BB0_24 Depth=1
                                        ;     Parent Loop BB0_69 Depth=2
                                        ; =>    This Inner Loop Header: Depth=3
	s_add_i32 s26, s26, 1
	s_cmpk_lg_i32 s26, 0x2710
	s_cselect_b64 s[72:73], -1, 0
	s_and_b64 vcc, exec, s[72:73]
	s_cbranch_vccz .LBB0_137
; %bb.136:                              ;   in Loop: Header=BB0_135 Depth=3
	s_mov_b64 s[76:77], -1
	s_or_b64 s[62:63], s[62:63], exec
	s_and_saveexec_b64 s[74:75], s[72:73]
	s_cbranch_execz .LBB0_134
	s_branch .LBB0_138
.LBB0_137:                              ;   in Loop: Header=BB0_135 Depth=3
	s_trap 2
	ds_read_b64 v[4:5], v0
	s_andn2_b64 s[72:73], s[72:73], exec
	s_mov_b32 s26, 0
	s_waitcnt lgkmcnt(0)
	flat_load_dword v3, v[4:5] sc0 sc1
	s_waitcnt vmcnt(0) lgkmcnt(0)
	buffer_inv sc0 sc1
	v_cmp_eq_u32_e32 vcc, 0, v3
	s_and_b64 s[74:75], vcc, exec
	s_or_b64 s[72:73], s[72:73], s[74:75]
	s_mov_b64 s[76:77], -1
	s_or_b64 s[62:63], s[62:63], exec
	s_and_saveexec_b64 s[74:75], s[72:73]
	s_cbranch_execz .LBB0_134
.LBB0_138:                              ;   in Loop: Header=BB0_135 Depth=3
	s_sleep 1
	s_trap 2
	ds_read_b64 v[4:5], v0
	s_waitcnt lgkmcnt(0)
	s_andn2_b64 s[62:63], s[62:63], exec
	v_cmp_ge_u64_e32 vcc, v[4:5], v[54:55]
	s_orn2_b64 s[76:77], vcc, exec
	s_branch .LBB0_134
.LBB0_139:                              ;   in Loop: Header=BB0_69 Depth=2
	s_or_b64 exec, exec, s[58:59]
	s_and_saveexec_b64 s[58:59], s[60:61]
	s_xor_b64 s[58:59], exec, s[58:59]
	s_cbranch_execz .LBB0_141
; %bb.140:                              ;   in Loop: Header=BB0_69 Depth=2
	ds_write_b32 v0, v59
	s_trap 2
.LBB0_141:                              ;   in Loop: Header=BB0_69 Depth=2
	s_or_b64 exec, exec, s[56:57]
	;;#ASMSTART
	s_wakeup
	;;#ASMEND
.LBB0_142:                              ;   in Loop: Header=BB0_69 Depth=2
	s_or_b64 exec, exec, s[46:47]
.LBB0_143:                              ;   in Loop: Header=BB0_69 Depth=2
	s_andn2_saveexec_b64 s[18:19], s[18:19]
	s_cbranch_execz .LBB0_145
; %bb.144:                              ;   in Loop: Header=BB0_69 Depth=2
	buffer_wbl2 sc1
	s_waitcnt vmcnt(0) lgkmcnt(0)
	buffer_inv sc1
	s_barrier
.LBB0_145:                              ;   in Loop: Header=BB0_69 Depth=2
	s_or_b64 exec, exec, s[18:19]
	s_or_b64 exec, exec, s[16:17]
	s_and_saveexec_b64 s[16:17], s[10:11]
	s_cbranch_execnz .LBB0_107
	s_branch .LBB0_108
.LBB0_146:                              ;   in Loop: Header=BB0_24 Depth=1
	v_mov_b64_e32 v[20:21], v[116:117]
	s_and_saveexec_b64 s[18:19], s[14:15]
	s_cbranch_execnz .LBB0_149
; %bb.147:                              ;   in Loop: Header=BB0_24 Depth=1
	s_or_b64 exec, exec, s[18:19]
	s_and_saveexec_b64 s[14:15], s[6:7]
	s_cbranch_execnz .LBB0_170
.LBB0_148:                              ;   in Loop: Header=BB0_24 Depth=1
	s_or_b64 exec, exec, s[14:15]
	s_and_saveexec_b64 s[14:15], s[10:11]
	s_cbranch_execz .LBB0_23
	s_branch .LBB0_188
.LBB0_149:                              ;   in Loop: Header=BB0_24 Depth=1
	flat_load_dword v116, v[24:25]
	v_and_b32_e32 v18, 7, v36
	v_mul_lo_u32 v18, v18, v58
	v_ashrrev_i32_e32 v19, 31, v18
	v_lshlrev_b64 v[4:5], 3, v[114:115]
	v_lshl_add_u64 v[114:115], v[18:19], 4, v[34:35]
	v_lshl_add_u64 v[16:17], v[10:11], 0, v[4:5]
	s_waitcnt vmcnt(0) lgkmcnt(0)
	v_add_u32_e32 v3, 1, v36
	s_mov_b64 s[46:47], 0
	v_mov_b32_e32 v44, v60
	v_lshl_add_u64 v[4:5], v[84:85], 0, v[4:5]
	v_ashrrev_i32_e32 v117, 31, v116
	v_mul_lo_u32 v118, v69, v116
	v_mad_u64_u32 v[18:19], s[14:15], v68, v116, 0
	v_mul_lo_u32 v116, v68, v117
	v_add3_u32 v19, v19, v116, v118
	v_lshl_add_u64 v[16:17], v[18:19], 3, v[16:17]
	v_lshl_add_u64 v[116:117], v[0:1], 3, v[16:17]
	v_mov_b32_e32 v118, v0
	s_branch .LBB0_151
.LBB0_150:                              ;   in Loop: Header=BB0_151 Depth=2
	v_sub_u32_e32 v62, v62, v22
	v_cmp_gt_i32_e32 vcc, 1, v62
	v_lshl_add_u64 v[116:117], v[116:117], 0, v[98:99]
	v_lshl_add_u64 v[4:5], v[4:5], 0, v[98:99]
	s_or_b64 s[46:47], vcc, s[46:47]
	v_add_u32_e32 v118, v118, v22
	s_andn2_b64 exec, exec, s[46:47]
	s_cbranch_execz .LBB0_169
.LBB0_151:                              ;   Parent Loop BB0_24 Depth=1
                                        ; =>  This Loop Header: Depth=2
                                        ;       Child Loop BB0_156 Depth 3
	v_ashrrev_i32_e32 v119, 31, v118
	v_lshl_add_u64 v[42:43], v[118:119], 4, v[114:115]
	global_load_dwordx2 v[40:41], v[116:117], off nt
	global_load_dwordx4 v[16:19], v[42:43], off nt
	v_cmp_eq_u32_e32 vcc, 0, v44
	s_and_saveexec_b64 s[56:57], vcc
	s_cbranch_execz .LBB0_165
; %bb.152:                              ;   in Loop: Header=BB0_151 Depth=2
	s_waitcnt vmcnt(0)
	v_cmp_ne_u32_e32 vcc, v3, v17
	v_cmp_ne_u32_e64 s[14:15], v3, v19
	s_or_b64 s[14:15], vcc, s[14:15]
	v_mov_b32_e32 v44, 0
	s_and_saveexec_b64 s[58:59], s[14:15]
	s_cbranch_execz .LBB0_164
; %bb.153:                              ;   in Loop: Header=BB0_151 Depth=2
	v_mov_b32_e32 v44, 0
	v_cmp_eq_u32_e64 s[14:15], 0, v60
	s_mov_b32 s21, 1
	s_mov_b64 s[62:63], 0
                                        ; implicit-def: $sgpr60_sgpr61
                                        ; implicit-def: $sgpr72_sgpr73
	s_branch .LBB0_156
.LBB0_154:                              ;   in Loop: Header=BB0_156 Depth=3
	s_or_b64 exec, exec, s[74:75]
	s_andn2_b64 s[72:73], s[72:73], exec
	s_orn2_b64 s[16:17], s[16:17], exec
.LBB0_155:                              ;   in Loop: Header=BB0_156 Depth=3
	s_or_b64 exec, exec, s[78:79]
	s_and_b64 s[16:17], exec, s[16:17]
	s_or_b64 s[62:63], s[16:17], s[62:63]
	s_andn2_b64 s[16:17], s[60:61], exec
	s_and_b64 s[60:61], s[72:73], exec
	s_or_b64 s[60:61], s[16:17], s[60:61]
	s_andn2_b64 exec, exec, s[62:63]
	s_cbranch_execz .LBB0_161
.LBB0_156:                              ;   Parent Loop BB0_24 Depth=1
                                        ;     Parent Loop BB0_151 Depth=2
                                        ; =>    This Inner Loop Header: Depth=3
	global_load_dwordx4 v[16:19], v[42:43], off nt
	s_add_i32 s21, s21, 1
	s_cmpk_lg_i32 s21, 0x2710
	s_cselect_b64 s[74:75], -1, 0
	s_mov_b64 s[16:17], -1
	s_and_b64 vcc, exec, s[74:75]
	s_mov_b64 s[76:77], -1
                                        ; implicit-def: $vgpr119
	s_cbranch_vccz .LBB0_158
; %bb.157:                              ;   in Loop: Header=BB0_156 Depth=3
	s_or_b64 s[72:73], s[72:73], exec
	s_and_saveexec_b64 s[78:79], s[74:75]
	s_cbranch_execz .LBB0_155
	s_branch .LBB0_159
.LBB0_158:                              ;   in Loop: Header=BB0_156 Depth=3
	s_trap 2
	ds_read_b64 v[44:45], v0
	s_andn2_b64 s[74:75], s[74:75], exec
	s_mov_b32 s21, 0
	s_orn2_b64 s[76:77], s[14:15], exec
	s_waitcnt vmcnt(0) lgkmcnt(0)
	flat_load_dword v119, v[44:45] sc0 sc1
	s_waitcnt vmcnt(0) lgkmcnt(0)
	buffer_inv sc0 sc1
	v_mov_b32_e32 v44, v60
	v_cmp_eq_u32_e32 vcc, 0, v119
	s_and_b64 s[78:79], vcc, exec
	s_or_b64 s[74:75], s[74:75], s[78:79]
	s_or_b64 s[72:73], s[72:73], exec
	s_and_saveexec_b64 s[78:79], s[74:75]
	s_cbranch_execz .LBB0_155
.LBB0_159:                              ;   in Loop: Header=BB0_156 Depth=3
	s_and_saveexec_b64 s[74:75], s[76:77]
	s_cbranch_execz .LBB0_154
; %bb.160:                              ;   in Loop: Header=BB0_156 Depth=3
	s_waitcnt vmcnt(0)
	v_cmp_eq_u32_e32 vcc, v3, v17
	v_cmp_eq_u32_e64 s[16:17], v3, v19
	s_and_b64 s[16:17], vcc, s[16:17]
	s_orn2_b64 s[16:17], s[16:17], exec
	s_branch .LBB0_154
.LBB0_161:                              ;   in Loop: Header=BB0_151 Depth=2
	s_or_b64 exec, exec, s[62:63]
	s_and_saveexec_b64 s[14:15], s[60:61]
	s_xor_b64 s[14:15], exec, s[14:15]
	s_cbranch_execz .LBB0_163
; %bb.162:                              ;   in Loop: Header=BB0_151 Depth=2
	v_or_b32_e32 v44, 1, v60
	v_mov_b32_e32 v60, v44
	ds_write_b32 v0, v119
	s_trap 2
.LBB0_163:                              ;   in Loop: Header=BB0_151 Depth=2
	s_or_b64 exec, exec, s[14:15]
.LBB0_164:                              ;   in Loop: Header=BB0_151 Depth=2
	s_or_b64 exec, exec, s[58:59]
.LBB0_165:                              ;   in Loop: Header=BB0_151 Depth=2
	s_or_b64 exec, exec, s[56:57]
	s_waitcnt vmcnt(0)
	v_mov_b32_e32 v17, v18
	v_cndmask_b32_e64 v18, 0, 1, s[12:13]
	v_cmp_ne_u32_e32 vcc, 0, v18
	v_mul_f64 v[16:17], v[40:41], v[16:17]
	s_cmp_eq_u64 vcc, exec
	s_mov_b64 s[14:15], -1
	s_cbranch_scc1 .LBB0_167
; %bb.166:                              ;   in Loop: Header=BB0_151 Depth=2
	s_mov_b64 s[14:15], 0
	flat_store_dwordx2 v[4:5], v[16:17]
.LBB0_167:                              ;   in Loop: Header=BB0_151 Depth=2
	s_andn2_b64 vcc, exec, s[14:15]
	s_cbranch_vccnz .LBB0_150
; %bb.168:                              ;   in Loop: Header=BB0_151 Depth=2
	global_store_dwordx2 v[4:5], v[16:17], off
	s_branch .LBB0_150
.LBB0_169:                              ;   in Loop: Header=BB0_24 Depth=1
	s_or_b64 exec, exec, s[46:47]
	s_or_b64 exec, exec, s[18:19]
	s_and_saveexec_b64 s[14:15], s[6:7]
	s_cbranch_execz .LBB0_148
.LBB0_170:                              ;   in Loop: Header=BB0_24 Depth=1
	s_and_saveexec_b64 s[16:17], s[40:41]
	s_xor_b64 s[16:17], exec, s[16:17]
	s_cbranch_execz .LBB0_185
; %bb.171:                              ;   in Loop: Header=BB0_24 Depth=1
	s_and_saveexec_b64 s[18:19], s[8:9]
	s_cbranch_execz .LBB0_184
; %bb.172:                              ;   in Loop: Header=BB0_24 Depth=1
	s_mov_b64 s[56:57], exec
	s_waitcnt vmcnt(0) lgkmcnt(0)
	v_mbcnt_lo_u32_b32 v3, s56, 0
	v_mbcnt_hi_u32_b32 v3, s57, v3
	v_cmp_eq_u32_e32 vcc, 0, v3
	buffer_wbl2 sc1
	buffer_inv sc1
	s_and_saveexec_b64 s[46:47], vcc
	s_cbranch_execz .LBB0_174
; %bb.173:                              ;   in Loop: Header=BB0_24 Depth=1
	s_bcnt1_i32_b64 s21, s[56:57]
	v_mov_b32_e32 v4, s21
	v_mov_b32_e32 v5, v2
	ds_add_u64 v0, v[4:5]
	s_trap 2
.LBB0_174:                              ;   in Loop: Header=BB0_24 Depth=1
	s_or_b64 exec, exec, s[46:47]
	s_trap 2
	ds_read_b64 v[4:5], v0
	s_waitcnt lgkmcnt(0)
	v_lshl_add_u64 v[54:55], v[54:55], 0, v[80:81]
	v_cmp_lt_u64_e32 vcc, v[4:5], v[54:55]
	s_and_saveexec_b64 s[46:47], vcc
	s_cbranch_execz .LBB0_183
; %bb.175:                              ;   in Loop: Header=BB0_24 Depth=1
	s_mov_b32 s21, 0
	s_mov_b64 s[56:57], 0
                                        ; implicit-def: $sgpr58_sgpr59
                                        ; implicit-def: $sgpr60_sgpr61
	s_branch .LBB0_177
.LBB0_176:                              ;   in Loop: Header=BB0_177 Depth=2
	s_or_b64 exec, exec, s[72:73]
	s_and_b64 s[62:63], exec, s[74:75]
	s_or_b64 s[56:57], s[62:63], s[56:57]
	s_andn2_b64 s[58:59], s[58:59], exec
	s_and_b64 s[62:63], s[60:61], exec
	s_or_b64 s[58:59], s[58:59], s[62:63]
	s_andn2_b64 exec, exec, s[56:57]
	s_cbranch_execz .LBB0_181
.LBB0_177:                              ;   Parent Loop BB0_24 Depth=1
                                        ; =>  This Inner Loop Header: Depth=2
	s_add_i32 s21, s21, 1
	s_cmpk_lg_i32 s21, 0x2710
	s_cselect_b64 s[62:63], -1, 0
	s_and_b64 vcc, exec, s[62:63]
	s_cbranch_vccz .LBB0_179
; %bb.178:                              ;   in Loop: Header=BB0_177 Depth=2
	s_mov_b64 s[74:75], -1
	s_or_b64 s[60:61], s[60:61], exec
	s_and_saveexec_b64 s[72:73], s[62:63]
	s_cbranch_execz .LBB0_176
	s_branch .LBB0_180
.LBB0_179:                              ;   in Loop: Header=BB0_177 Depth=2
	s_trap 2
	ds_read_b64 v[4:5], v0
	s_andn2_b64 s[62:63], s[62:63], exec
	s_mov_b32 s21, 0
	s_waitcnt lgkmcnt(0)
	flat_load_dword v3, v[4:5] sc0 sc1
	s_waitcnt vmcnt(0) lgkmcnt(0)
	buffer_inv sc0 sc1
	v_cmp_eq_u32_e32 vcc, 0, v3
	s_and_b64 s[72:73], vcc, exec
	s_or_b64 s[62:63], s[62:63], s[72:73]
	s_mov_b64 s[74:75], -1
	s_or_b64 s[60:61], s[60:61], exec
	s_and_saveexec_b64 s[72:73], s[62:63]
	s_cbranch_execz .LBB0_176
.LBB0_180:                              ;   in Loop: Header=BB0_177 Depth=2
	s_sleep 1
	s_trap 2
	ds_read_b64 v[4:5], v0
	s_waitcnt lgkmcnt(0)
	s_andn2_b64 s[60:61], s[60:61], exec
	v_cmp_ge_u64_e32 vcc, v[4:5], v[54:55]
	s_orn2_b64 s[74:75], vcc, exec
	s_branch .LBB0_176
.LBB0_181:                              ;   in Loop: Header=BB0_24 Depth=1
	s_or_b64 exec, exec, s[56:57]
	s_and_saveexec_b64 s[56:57], s[58:59]
	s_xor_b64 s[56:57], exec, s[56:57]
	s_cbranch_execz .LBB0_183
; %bb.182:                              ;   in Loop: Header=BB0_24 Depth=1
	ds_write_b32 v0, v59
	s_trap 2
.LBB0_183:                              ;   in Loop: Header=BB0_24 Depth=1
	s_or_b64 exec, exec, s[46:47]
	;;#ASMSTART
	s_wakeup
	;;#ASMEND
.LBB0_184:                              ;   in Loop: Header=BB0_24 Depth=1
	s_or_b64 exec, exec, s[18:19]
.LBB0_185:                              ;   in Loop: Header=BB0_24 Depth=1
	s_andn2_saveexec_b64 s[16:17], s[16:17]
	s_cbranch_execz .LBB0_187
; %bb.186:                              ;   in Loop: Header=BB0_24 Depth=1
	buffer_wbl2 sc1
	s_waitcnt vmcnt(0) lgkmcnt(0)
	buffer_inv sc1
	s_barrier
.LBB0_187:                              ;   in Loop: Header=BB0_24 Depth=1
	s_or_b64 exec, exec, s[16:17]
	s_or_b64 exec, exec, s[14:15]
	s_and_saveexec_b64 s[14:15], s[10:11]
	s_cbranch_execz .LBB0_23
.LBB0_188:                              ;   in Loop: Header=BB0_24 Depth=1
	v_lshl_add_u64 v[48:49], v[48:49], 0, 1
	flat_store_dwordx2 v[50:51], v[48:49] sc0 sc1
	s_branch .LBB0_23
.LBB0_189:
	s_or_b64 exec, exec, s[28:29]
	s_or_b64 exec, exec, s[24:25]
	s_and_saveexec_b64 s[2:3], s[22:23]
	s_cbranch_execz .LBB0_20
.LBB0_190:
	s_waitcnt vmcnt(0) lgkmcnt(0)
	flat_store_dwordx2 v[32:33], v[48:49] offset:104
	s_or_b64 exec, exec, s[2:3]
	s_and_saveexec_b64 s[2:3], s[0:1]
	s_cbranch_execz .LBB0_21
.LBB0_191:
	s_waitcnt vmcnt(0) lgkmcnt(0)
	flat_store_dwordx2 v[28:29], v[14:15] offset:104
	s_or_b64 exec, exec, s[2:3]
	v_cmp_ne_u32_e32 vcc, 64, v22
	s_and_saveexec_b64 s[0:1], vcc
	s_cbranch_execz .LBB0_209
.LBB0_192:
	v_cmp_ne_u32_sdwa s[2:3], v22, v30 src0_sel:DWORD src1_sel:WORD_0
	s_and_saveexec_b64 s[4:5], s[2:3]
	s_xor_b64 s[2:3], exec, s[4:5]
	s_cbranch_execz .LBB0_207
; %bb.193:
	v_and_b32_e32 v0, 63, v31
	v_cmp_eq_u32_e32 vcc, 0, v0
	s_and_saveexec_b64 s[4:5], vcc
	s_cbranch_execz .LBB0_206
; %bb.194:
	s_mov_b64 s[8:9], exec
	v_mbcnt_lo_u32_b32 v0, s8, 0
	v_mbcnt_hi_u32_b32 v0, s9, v0
	v_cmp_eq_u32_e32 vcc, 0, v0
	buffer_wbl2 sc1
	s_waitcnt vmcnt(0) lgkmcnt(0)
	buffer_inv sc1
	s_and_saveexec_b64 s[6:7], vcc
	s_cbranch_execz .LBB0_196
; %bb.195:
	s_bcnt1_i32_b64 s8, s[8:9]
	v_mov_b32_e32 v0, s8
	v_mov_b32_e32 v1, 0
	ds_add_u64 v0, v[0:1]
	s_trap 2
.LBB0_196:
	s_or_b64 exec, exec, s[6:7]
	s_trap 2
	ds_read_b64 v[2:3], v0
	s_waitcnt lgkmcnt(0)
	v_lshrrev_b32_e32 v0, 6, v22
	v_mov_b32_e32 v1, 0
	v_lshl_add_u64 v[0:1], v[54:55], 0, v[0:1]
	v_cmp_lt_u64_e32 vcc, v[2:3], v[0:1]
	s_and_saveexec_b64 s[6:7], vcc
	s_cbranch_execz .LBB0_205
; %bb.197:
	s_mov_b32 s20, 0
	s_mov_b64 s[8:9], 0
                                        ; implicit-def: $sgpr10_sgpr11
                                        ; implicit-def: $sgpr12_sgpr13
	s_branch .LBB0_199
.LBB0_198:                              ;   in Loop: Header=BB0_199 Depth=1
	s_or_b64 exec, exec, s[16:17]
	s_and_b64 s[14:15], exec, s[18:19]
	s_or_b64 s[8:9], s[14:15], s[8:9]
	s_andn2_b64 s[10:11], s[10:11], exec
	s_and_b64 s[14:15], s[12:13], exec
	s_or_b64 s[10:11], s[10:11], s[14:15]
	s_andn2_b64 exec, exec, s[8:9]
	s_cbranch_execz .LBB0_203
.LBB0_199:                              ; =>This Inner Loop Header: Depth=1
	s_add_i32 s20, s20, 1
	s_cmpk_lg_i32 s20, 0x2710
	s_cselect_b64 s[14:15], -1, 0
	s_and_b64 vcc, exec, s[14:15]
	s_cbranch_vccz .LBB0_201
; %bb.200:                              ;   in Loop: Header=BB0_199 Depth=1
	s_mov_b64 s[18:19], -1
	s_or_b64 s[12:13], s[12:13], exec
	s_and_saveexec_b64 s[16:17], s[14:15]
	s_cbranch_execz .LBB0_198
	s_branch .LBB0_202
.LBB0_201:                              ;   in Loop: Header=BB0_199 Depth=1
	s_trap 2
	ds_read_b64 v[2:3], v0
	s_andn2_b64 s[14:15], s[14:15], exec
	s_mov_b32 s20, 0
	s_waitcnt lgkmcnt(0)
	flat_load_dword v2, v[2:3] sc0 sc1
	s_waitcnt vmcnt(0) lgkmcnt(0)
	buffer_inv sc0 sc1
	v_cmp_eq_u32_e32 vcc, 0, v2
	s_and_b64 s[16:17], vcc, exec
	s_or_b64 s[14:15], s[14:15], s[16:17]
	s_mov_b64 s[18:19], -1
	s_or_b64 s[12:13], s[12:13], exec
	s_and_saveexec_b64 s[16:17], s[14:15]
	s_cbranch_execz .LBB0_198
.LBB0_202:                              ;   in Loop: Header=BB0_199 Depth=1
	s_sleep 1
	s_trap 2
	ds_read_b64 v[2:3], v0
	s_waitcnt lgkmcnt(0)
	s_andn2_b64 s[12:13], s[12:13], exec
	v_cmp_ge_u64_e32 vcc, v[2:3], v[0:1]
	s_orn2_b64 s[18:19], vcc, exec
	s_branch .LBB0_198
.LBB0_203:
	s_or_b64 exec, exec, s[8:9]
	s_and_saveexec_b64 s[8:9], s[10:11]
	s_xor_b64 s[8:9], exec, s[8:9]
	s_cbranch_execz .LBB0_205
; %bb.204:
	v_mov_b32_e32 v0, 1
	ds_write_b32 v0, v0
	s_trap 2
.LBB0_205:
	s_or_b64 exec, exec, s[6:7]
	;;#ASMSTART
	s_wakeup
	;;#ASMEND
.LBB0_206:
	s_or_b64 exec, exec, s[4:5]
.LBB0_207:
	s_andn2_saveexec_b64 s[2:3], s[2:3]
	s_cbranch_execz .LBB0_209
; %bb.208:
	buffer_wbl2 sc1
	s_waitcnt vmcnt(0) lgkmcnt(0)
	buffer_inv sc1
	s_barrier
.LBB0_209:
	s_or_b64 exec, exec, s[0:1]
	scratch_load_dword v75, off, s32        ; 4-byte Folded Reload
	scratch_load_dword v74, off, s32 offset:4 ; 4-byte Folded Reload
	scratch_load_dword v73, off, s32 offset:8 ; 4-byte Folded Reload
	;; [unrolled: 1-line block ×19, first 2 shown]
	s_waitcnt vmcnt(0) lgkmcnt(0)
	s_setpc_b64 s[30:31]
.Lfunc_end0:
	.size	_ZN12_GLOBAL__N_17runRingId8FuncProdIdE7ProtoLLLi0ELi1ELi0EEEviiP15ncclDevWorkColl, .Lfunc_end0-_ZN12_GLOBAL__N_17runRingId8FuncProdIdE7ProtoLLLi0ELi1ELi0EEEviiP15ncclDevWorkColl
                                        ; -- End function
	.set .L_ZN12_GLOBAL__N_17runRingId8FuncProdIdE7ProtoLLLi0ELi1ELi0EEEviiP15ncclDevWorkColl.num_vgpr, 120
	.set .L_ZN12_GLOBAL__N_17runRingId8FuncProdIdE7ProtoLLLi0ELi1ELi0EEEviiP15ncclDevWorkColl.num_agpr, 0
	.set .L_ZN12_GLOBAL__N_17runRingId8FuncProdIdE7ProtoLLLi0ELi1ELi0EEEviiP15ncclDevWorkColl.numbered_sgpr, 90
	.set .L_ZN12_GLOBAL__N_17runRingId8FuncProdIdE7ProtoLLLi0ELi1ELi0EEEviiP15ncclDevWorkColl.num_named_barrier, 0
	.set .L_ZN12_GLOBAL__N_17runRingId8FuncProdIdE7ProtoLLLi0ELi1ELi0EEEviiP15ncclDevWorkColl.private_seg_size, 84
	.set .L_ZN12_GLOBAL__N_17runRingId8FuncProdIdE7ProtoLLLi0ELi1ELi0EEEviiP15ncclDevWorkColl.uses_vcc, 1
	.set .L_ZN12_GLOBAL__N_17runRingId8FuncProdIdE7ProtoLLLi0ELi1ELi0EEEviiP15ncclDevWorkColl.uses_flat_scratch, 0
	.set .L_ZN12_GLOBAL__N_17runRingId8FuncProdIdE7ProtoLLLi0ELi1ELi0EEEviiP15ncclDevWorkColl.has_dyn_sized_stack, 0
	.set .L_ZN12_GLOBAL__N_17runRingId8FuncProdIdE7ProtoLLLi0ELi1ELi0EEEviiP15ncclDevWorkColl.has_recursion, 0
	.set .L_ZN12_GLOBAL__N_17runRingId8FuncProdIdE7ProtoLLLi0ELi1ELi0EEEviiP15ncclDevWorkColl.has_indirect_call, 0
	.section	.AMDGPU.csdata,"",@progbits
; Function info:
; codeLenInByte = 6564
; TotalNumSgprs: 96
; NumVgprs: 120
; NumAgprs: 0
; TotalNumVgprs: 120
; ScratchSize: 84
; MemoryBound: 0
	.text
	.p2align	2                               ; -- Begin function _Z48ncclDevFunc_ReduceScatter_RING_LL_Prod_f64_0_0_1v
	.type	_Z48ncclDevFunc_ReduceScatter_RING_LL_Prod_f64_0_0_1v,@function
_Z48ncclDevFunc_ReduceScatter_RING_LL_Prod_f64_0_0_1v: ; @_Z48ncclDevFunc_ReduceScatter_RING_LL_Prod_f64_0_0_1v
; %bb.0:
	s_waitcnt vmcnt(0) expcnt(0) lgkmcnt(0)
	s_mov_b32 s0, s33
	s_mov_b32 s33, s32
	s_or_saveexec_b64 s[2:3], -1
	scratch_store_dword off, v42, s33 offset:8 ; 4-byte Folded Spill
	s_mov_b64 exec, s[2:3]
	v_writelane_b32 v42, s0, 2
	s_add_i32 s32, s32, 16
	scratch_store_dword off, v40, s33 offset:4 ; 4-byte Folded Spill
	scratch_store_dword off, v41, s33       ; 4-byte Folded Spill
	v_writelane_b32 v42, s30, 0
	s_nop 1
	v_writelane_b32 v42, s31, 1
	s_trap 2
	ds_read_b32 v0, v0
	s_waitcnt lgkmcnt(0)
	v_cmp_gt_i32_e32 vcc, 1, v0
	s_cbranch_vccnz .LBB1_8
; %bb.1:
	s_mov_b32 s92, s12
	s_mov_b64 s[90:91], s[8:9]
	s_mov_b32 s93, 0
	v_and_b32_e32 v40, 0x3ff, v31
	v_mov_b32_e32 v41, 6
	s_branch .LBB1_3
.LBB1_2:                                ;   in Loop: Header=BB1_3 Depth=1
	s_or_b64 exec, exec, s[94:95]
	s_trap 2
	ds_read_b32 v0, v0
	s_add_i32 s93, s93, 1
	s_waitcnt lgkmcnt(0)
	v_cmp_lt_i32_e32 vcc, s93, v0
	s_cbranch_vccz .LBB1_8
.LBB1_3:                                ; =>This Inner Loop Header: Depth=1
	s_trap 2
	ds_read_b32 v0, v0
	s_cmp_eq_u32 s93, 0
	s_cbranch_scc1 .LBB1_6
; %bb.4:                                ;   in Loop: Header=BB1_3 Depth=1
	s_trap 2
	s_waitcnt lgkmcnt(0)
	ds_read_b32 v1, v0
	s_waitcnt lgkmcnt(0)
	v_xor_b32_e32 v1, v1, v0
	v_and_b32_e32 v1, 0xff0000, v1
	v_cmp_eq_u32_e32 vcc, 0, v1
	s_cbranch_vccnz .LBB1_6
; %bb.5:                                ;   in Loop: Header=BB1_3 Depth=1
	s_barrier
	ds_read_b32 v0, v0
.LBB1_6:                                ;   in Loop: Header=BB1_3 Depth=1
	s_waitcnt lgkmcnt(0)
	v_lshlrev_b32_sdwa v1, v41, v0 dst_sel:DWORD dst_unused:UNUSED_PAD src0_sel:DWORD src1_sel:BYTE_2
	v_cmp_lt_u32_e32 vcc, v40, v1
	s_and_saveexec_b64 s[94:95], vcc
	s_cbranch_execz .LBB1_2
; %bb.7:                                ;   in Loop: Header=BB1_3 Depth=1
	s_mov_b64 s[0:1], src_shared_base
	s_getpc_b64 s[2:3]
	s_add_u32 s2, s2, _ZN12_GLOBAL__N_17runRingId8FuncProdIdE7ProtoLLLi0ELi1ELi0EEEviiP15ncclDevWorkColl@rel32@lo+4
	s_addc_u32 s3, s3, _ZN12_GLOBAL__N_17runRingId8FuncProdIdE7ProtoLLLi0ELi1ELi0EEEviiP15ncclDevWorkColl@rel32@hi+12
	s_mov_b64 s[8:9], s[90:91]
	s_mov_b32 s12, s92
	v_mov_b32_e32 v0, v40
	v_mov_b32_e32 v3, s1
	s_swappc_b64 s[30:31], s[2:3]
	s_branch .LBB1_2
.LBB1_8:
	scratch_load_dword v41, off, s33        ; 4-byte Folded Reload
	scratch_load_dword v40, off, s33 offset:4 ; 4-byte Folded Reload
	v_readlane_b32 s30, v42, 0
	v_readlane_b32 s31, v42, 1
	s_mov_b32 s32, s33
	v_readlane_b32 s0, v42, 2
	s_or_saveexec_b64 s[2:3], -1
	scratch_load_dword v42, off, s33 offset:8 ; 4-byte Folded Reload
	s_mov_b64 exec, s[2:3]
	s_mov_b32 s33, s0
	s_waitcnt vmcnt(0)
	s_setpc_b64 s[30:31]
.Lfunc_end1:
	.size	_Z48ncclDevFunc_ReduceScatter_RING_LL_Prod_f64_0_0_1v, .Lfunc_end1-_Z48ncclDevFunc_ReduceScatter_RING_LL_Prod_f64_0_0_1v
                                        ; -- End function
	.set .L_Z48ncclDevFunc_ReduceScatter_RING_LL_Prod_f64_0_0_1v.num_vgpr, max(43, .L_ZN12_GLOBAL__N_17runRingId8FuncProdIdE7ProtoLLLi0ELi1ELi0EEEviiP15ncclDevWorkColl.num_vgpr)
	.set .L_Z48ncclDevFunc_ReduceScatter_RING_LL_Prod_f64_0_0_1v.num_agpr, max(0, .L_ZN12_GLOBAL__N_17runRingId8FuncProdIdE7ProtoLLLi0ELi1ELi0EEEviiP15ncclDevWorkColl.num_agpr)
	.set .L_Z48ncclDevFunc_ReduceScatter_RING_LL_Prod_f64_0_0_1v.numbered_sgpr, max(96, .L_ZN12_GLOBAL__N_17runRingId8FuncProdIdE7ProtoLLLi0ELi1ELi0EEEviiP15ncclDevWorkColl.numbered_sgpr)
	.set .L_Z48ncclDevFunc_ReduceScatter_RING_LL_Prod_f64_0_0_1v.num_named_barrier, max(0, .L_ZN12_GLOBAL__N_17runRingId8FuncProdIdE7ProtoLLLi0ELi1ELi0EEEviiP15ncclDevWorkColl.num_named_barrier)
	.set .L_Z48ncclDevFunc_ReduceScatter_RING_LL_Prod_f64_0_0_1v.private_seg_size, 16+max(.L_ZN12_GLOBAL__N_17runRingId8FuncProdIdE7ProtoLLLi0ELi1ELi0EEEviiP15ncclDevWorkColl.private_seg_size)
	.set .L_Z48ncclDevFunc_ReduceScatter_RING_LL_Prod_f64_0_0_1v.uses_vcc, or(1, .L_ZN12_GLOBAL__N_17runRingId8FuncProdIdE7ProtoLLLi0ELi1ELi0EEEviiP15ncclDevWorkColl.uses_vcc)
	.set .L_Z48ncclDevFunc_ReduceScatter_RING_LL_Prod_f64_0_0_1v.uses_flat_scratch, or(0, .L_ZN12_GLOBAL__N_17runRingId8FuncProdIdE7ProtoLLLi0ELi1ELi0EEEviiP15ncclDevWorkColl.uses_flat_scratch)
	.set .L_Z48ncclDevFunc_ReduceScatter_RING_LL_Prod_f64_0_0_1v.has_dyn_sized_stack, or(0, .L_ZN12_GLOBAL__N_17runRingId8FuncProdIdE7ProtoLLLi0ELi1ELi0EEEviiP15ncclDevWorkColl.has_dyn_sized_stack)
	.set .L_Z48ncclDevFunc_ReduceScatter_RING_LL_Prod_f64_0_0_1v.has_recursion, or(1, .L_ZN12_GLOBAL__N_17runRingId8FuncProdIdE7ProtoLLLi0ELi1ELi0EEEviiP15ncclDevWorkColl.has_recursion)
	.set .L_Z48ncclDevFunc_ReduceScatter_RING_LL_Prod_f64_0_0_1v.has_indirect_call, or(0, .L_ZN12_GLOBAL__N_17runRingId8FuncProdIdE7ProtoLLLi0ELi1ELi0EEEviiP15ncclDevWorkColl.has_indirect_call)
	.section	.AMDGPU.csdata,"",@progbits
; Function info:
; codeLenInByte = 376
; TotalNumSgprs: 102
; NumVgprs: 120
; NumAgprs: 0
; TotalNumVgprs: 120
; ScratchSize: 100
; MemoryBound: 0
	.text
	.p2align	2                               ; -- Begin function _ZN12_GLOBAL__N_17runRingId8FuncProdIdE7ProtoLLLi0ELi2ELi0EEEviiP15ncclDevWorkColl
	.type	_ZN12_GLOBAL__N_17runRingId8FuncProdIdE7ProtoLLLi0ELi2ELi0EEEviiP15ncclDevWorkColl,@function
_ZN12_GLOBAL__N_17runRingId8FuncProdIdE7ProtoLLLi0ELi2ELi0EEEviiP15ncclDevWorkColl: ; @_ZN12_GLOBAL__N_17runRingId8FuncProdIdE7ProtoLLLi0ELi2ELi0EEEviiP15ncclDevWorkColl
; %bb.0:
	s_waitcnt vmcnt(0) expcnt(0) lgkmcnt(0)
	scratch_store_dword off, v40, s32 offset:76 ; 4-byte Folded Spill
	scratch_store_dword off, v41, s32 offset:72 ; 4-byte Folded Spill
	;; [unrolled: 1-line block ×19, first 2 shown]
	scratch_store_dword off, v75, s32       ; 4-byte Folded Spill
	s_trap 2
	flat_load_dword v9, v[2:3]
	flat_load_dwordx4 v[4:7], v[2:3] offset:72
	flat_load_dwordx2 v[16:17], v[2:3] offset:88
	s_movk_i32 s0, 0xff
	v_mov_b32_e32 v22, v1
	ds_read_b32 v1, v0
	ds_read_b64 v[24:25], v0
                                        ; implicit-def: $vgpr86_vgpr87
                                        ; implicit-def: $vgpr26_vgpr27
	s_waitcnt lgkmcnt(0)
	v_readfirstlane_b32 s20, v1
	s_waitcnt vmcnt(0)
	v_bitop3_b32 v8, v9, s0, v9 bitop3:0x3f
	v_add_u32_sdwa v10, v9, v8 dst_sel:DWORD dst_unused:UNUSED_PAD src0_sel:BYTE_1 src1_sel:DWORD
	v_ashrrev_i32_e32 v11, 31, v10
	v_mul_lo_u32 v12, v7, v10
	v_mad_u64_u32 v[18:19], s[0:1], v6, v10, 0
	v_mul_lo_u32 v10, v6, v11
	v_add3_u32 v19, v19, v10, v12
	v_cmp_ne_u32_sdwa s[0:1], v1, v9 src0_sel:DWORD src1_sel:BYTE_0
	s_and_saveexec_b64 s[2:3], s[0:1]
	s_xor_b64 s[0:1], exec, s[2:3]
	s_cbranch_execz .LBB2_6
; %bb.1:
	v_cmp_ne_u32_sdwa s[2:3], v1, v9 src0_sel:DWORD src1_sel:BYTE_1
                                        ; implicit-def: $vgpr86_vgpr87
                                        ; implicit-def: $vgpr26_vgpr27
	s_and_saveexec_b64 s[4:5], s[2:3]
	s_xor_b64 s[2:3], exec, s[4:5]
	s_cbranch_execz .LBB2_3
; %bb.2:
	flat_load_dwordx2 v[10:11], v[2:3] offset:96
	v_add_u32_e32 v1, v1, v8
	v_ashrrev_i32_e32 v8, 31, v1
	v_mul_lo_u32 v8, v6, v8
	v_mul_lo_u32 v9, v7, v1
	v_mad_u64_u32 v[26:27], s[4:5], v6, v1, v[4:5]
	v_add3_u32 v27, v9, v27, v8
	s_waitcnt vmcnt(0) lgkmcnt(0)
	v_lshrrev_b64 v[86:87], 20, v[10:11]
.LBB2_3:
	s_andn2_saveexec_b64 s[2:3], s[2:3]
	s_cbranch_execz .LBB2_5
; %bb.4:
	flat_load_dword v1, v[2:3] offset:100
	v_lshl_add_u64 v[26:27], v[18:19], 0, v[4:5]
	v_mov_b64_e32 v[6:7], v[16:17]
	s_waitcnt vmcnt(0) lgkmcnt(0)
	v_lshrrev_b32_e32 v86, 9, v1
.LBB2_5:
	s_or_b64 exec, exec, s[2:3]
.LBB2_6:
	s_andn2_saveexec_b64 s[0:1], s[0:1]
	s_cbranch_execz .LBB2_8
; %bb.7:
	flat_load_dwordx2 v[6:7], v[2:3] offset:96
	v_mov_b64_e32 v[26:27], 0
	s_waitcnt vmcnt(0) lgkmcnt(0)
	v_lshlrev_b64 v[86:87], 1, v[6:7]
	v_mov_b64_e32 v[6:7], v[4:5]
.LBB2_8:
	s_or_b64 exec, exec, s[0:1]
	flat_load_ushort v13, v[2:3] offset:8
	flat_load_dword v12, v[2:3] offset:4
	s_load_dword s0, s[8:9], 0x0
	v_mov_b32_e32 v69, 0
	flat_load_dwordx4 v[8:11], v[2:3] offset:16
	v_ashrrev_i32_e32 v1, 31, v0
	v_lshrrev_b32_e32 v2, 26, v1
	s_waitcnt lgkmcnt(0)
	s_cmp_lt_u32 s12, s0
	s_cselect_b32 s0, 12, 18
	s_add_u32 s0, s8, s0
	s_addc_u32 s1, s9, 0
	global_load_ushort v30, v69, s[0:1]
	s_trap 2
	ds_read_b32 v68, v0
	v_add_u32_e32 v14, v0, v2
	s_mov_b32 s2, 0
	v_mov_b64_e32 v[28:29], 0
	s_waitcnt lgkmcnt(0)
	v_cmp_gt_i32_e32 vcc, 0, v68
	s_and_b64 vcc, exec, vcc
	s_waitcnt vmcnt(0)
	v_lshrrev_b64 v[2:3], 31, v[12:13]
	v_and_b32_e32 v15, 3, v2
	v_and_b32_e32 v2, 0xffffffc0, v14
	v_sub_u32_e32 v14, v0, v2
	v_cmp_eq_u32_e64 s[0:1], 0, v14
	s_cbranch_vccnz .LBB2_10
; %bb.9:
	s_trap 2
	ds_read_b64 v[2:3], v0
	v_lshlrev_b64 v[12:13], 3, v[68:69]
	s_movk_i32 s2, 0xa8
	s_waitcnt lgkmcnt(0)
	v_lshl_add_u64 v[2:3], v[2:3], 0, v[12:13]
	flat_load_dwordx2 v[2:3], v[2:3]
	v_and_b32_e32 v12, 0xffff, v15
	s_waitcnt vmcnt(0) lgkmcnt(0)
	v_mad_u64_u32 v[2:3], s[2:3], v12, s2, v[2:3]
	flat_load_dwordx2 v[34:35], v[2:3] offset:504
	flat_load_dwordx2 v[36:37], v[2:3] offset:608
	s_mov_b64 s[2:3], 0x1f8
	v_lshl_add_u64 v[32:33], v[2:3], 0, s[2:3]
	v_cndmask_b32_e64 v3, 0, v33, s[0:1]
	v_cndmask_b32_e64 v2, 0, v32, s[0:1]
	s_mov_b32 s2, 1
	s_branch .LBB2_11
.LBB2_10:
	v_mov_b64_e32 v[32:33], 0
                                        ; implicit-def: $vgpr36_vgpr37
                                        ; implicit-def: $vgpr34_vgpr35
	v_mov_b64_e32 v[2:3], 0
.LBB2_11:
	s_trap 2
	ds_read_b32 v12, v0
	s_waitcnt lgkmcnt(0)
	v_cmp_gt_i32_e32 vcc, 0, v12
	s_cbranch_vccnz .LBB2_13
; %bb.12:
	s_trap 2
	ds_read_b64 v[20:21], v0
	v_mov_b32_e32 v13, 0
	v_lshlrev_b64 v[12:13], 3, v[12:13]
	v_and_b32_e32 v15, 0xffff, v15
	s_movk_i32 s0, 0xa8
	s_waitcnt lgkmcnt(0)
	v_lshl_add_u64 v[12:13], v[20:21], 0, v[12:13]
	flat_load_dwordx2 v[12:13], v[12:13]
	v_cmp_eq_u32_e32 vcc, 0, v14
	s_waitcnt vmcnt(0) lgkmcnt(0)
	v_mad_u64_u32 v[28:29], s[0:1], v15, s0, v[12:13]
	flat_load_dwordx2 v[38:39], v[28:29]
	flat_load_dwordx2 v[20:21], v[28:29] offset:104
	v_cndmask_b32_e32 v55, 0, v29, vcc
	v_cndmask_b32_e32 v54, 0, v28, vcc
	s_branch .LBB2_14
.LBB2_13:
                                        ; implicit-def: $vgpr20_vgpr21
                                        ; implicit-def: $vgpr38_vgpr39
	v_mov_b64_e32 v[54:55], 0
.LBB2_14:
	v_subrev_u32_e32 v12, 64, v22
	v_cmp_ge_i32_e32 vcc, v0, v12
	v_cmp_gt_i32_e64 s[0:1], s2, v14
	s_and_b64 s[22:23], vcc, s[0:1]
	v_mov_b64_e32 v[12:13], 0
	v_mov_b64_e32 v[50:51], 0
                                        ; implicit-def: $vgpr48_vgpr49
	s_and_saveexec_b64 s[0:1], s[22:23]
	s_cbranch_execz .LBB2_16
; %bb.15:
	flat_load_dwordx2 v[50:51], v[2:3] offset:56
	flat_load_dwordx2 v[48:49], v[2:3] offset:104
.LBB2_16:
	s_or_b64 exec, exec, s[0:1]
	v_cmp_gt_i32_e64 s[0:1], s2, v0
	v_mov_b64_e32 v[52:53], 0
                                        ; implicit-def: $vgpr64_vgpr65
	s_and_saveexec_b64 s[2:3], s[0:1]
	s_cbranch_execz .LBB2_18
; %bb.17:
	flat_load_dwordx2 v[52:53], v[54:55] offset:56
	s_waitcnt vmcnt(0) lgkmcnt(0)
	flat_load_dwordx2 v[64:65], v[52:53] sc0 sc1
	s_waitcnt vmcnt(0)
	flat_load_dwordx4 v[12:15], v[54:55] offset:96
.LBB2_18:
	s_or_b64 exec, exec, s[2:3]
	v_mov_b64_e32 v[54:55], 0
	v_cmp_ne_u64_e32 vcc, 0, v[6:7]
	s_and_saveexec_b64 s[24:25], vcc
	s_cbranch_execnz .LBB2_22
; %bb.19:
	s_or_b64 exec, exec, s[24:25]
	s_and_saveexec_b64 s[2:3], s[22:23]
	s_cbranch_execnz .LBB2_190
.LBB2_20:
	s_or_b64 exec, exec, s[2:3]
	s_and_saveexec_b64 s[2:3], s[0:1]
	s_cbranch_execnz .LBB2_191
.LBB2_21:
	s_or_b64 exec, exec, s[2:3]
	v_cmp_ne_u32_e32 vcc, 64, v22
	s_and_saveexec_b64 s[0:1], vcc
	s_cbranch_execnz .LBB2_192
	s_branch .LBB2_209
.LBB2_22:
	v_ashrrev_i32_e32 v3, 31, v68
	s_ashr_i32 s21, s20, 31
	v_lshrrev_b32_e32 v3, 29, v3
	v_lshl_add_u64 v[4:5], v[16:17], 0, v[4:5]
	s_lshl_b64 s[2:3], s[20:21], 2
	v_add_u32_e32 v3, v68, v3
	v_lshl_add_u64 v[68:69], v[4:5], 0, v[18:19]
	v_lshl_add_u64 v[4:5], v[24:25], 0, s[2:3]
	v_mov_b32_e32 v2, 0
	v_ashrrev_i32_e32 v58, 7, v3
	v_lshl_add_u64 v[70:71], v[4:5], 0, -4
	v_and_b32_e32 v3, 63, v31
	v_lshlrev_b64 v[4:5], 3, v[0:1]
	v_cmp_eq_u32_e64 s[8:9], 0, v3
	v_mov_b32_e32 v23, v2
	s_cmp_gt_i32 s20, 2
	v_lshl_add_u64 v[82:83], v[10:11], 0, v[4:5]
	v_lshl_add_u64 v[84:85], v[8:9], 0, v[4:5]
	v_and_b32_e32 v8, 7, v8
	v_mov_b32_e32 v9, v2
	v_lshl_add_u64 v[4:5], v[26:27], 3, v[4:5]
	v_lshlrev_b32_e32 v3, 3, v86
	v_and_b32_e32 v66, 0x3ffffe, v86
	s_mov_b32 s27, 0
	v_mov_b32_e32 v67, v2
	s_mov_b64 s[28:29], 0
	v_cmp_ne_u64_e64 s[2:3], 0, v[52:53]
	s_waitcnt vmcnt(0) lgkmcnt(0)
	v_cmp_ne_u64_e64 s[4:5], 0, v[12:13]
	v_cmp_ne_u32_e64 s[6:7], 64, v22
	v_cmp_ne_u32_sdwa s[40:41], v22, v30 src0_sel:DWORD src1_sel:WORD_0
	v_lshrrev_b32_e32 v80, 6, v22
	v_mov_b32_e32 v81, v2
	s_cselect_b64 s[42:43], -1, 0
	v_cmp_ne_u64_e64 s[10:11], 0, v[50:51]
	v_cmp_eq_u64_e64 s[12:13], 0, v[8:9]
	v_lshl_add_u64 v[8:9], v[10:11], 0, v[4:5]
	v_and_b32_e32 v86, 0x1fffff0, v3
	v_mov_b32_e32 v87, v2
	v_lshlrev_b64 v[96:97], 3, v[68:69]
	v_lshlrev_b64 v[98:99], 3, v[22:23]
	v_lshl_add_u64 v[100:101], v[0:1], 4, v[38:39]
	v_lshlrev_b64 v[102:103], 4, v[22:23]
	v_mov_b64_e32 v[112:113], 0
	s_mov_b64 s[44:45], 0x7ffffff8
	v_mov_b32_e32 v59, 1
	v_mov_b32_e32 v60, 0
	v_mov_b64_e32 v[54:55], 0
	s_branch .LBB2_24
.LBB2_23:                               ;   in Loop: Header=BB2_24 Depth=1
	s_or_b64 exec, exec, s[14:15]
	v_lshl_add_u64 v[112:113], v[112:113], 0, v[66:67]
	v_cmp_ge_u64_e32 vcc, v[112:113], v[6:7]
	v_lshl_add_u64 v[36:37], v[36:37], 0, 1
	s_or_b64 s[28:29], vcc, s[28:29]
	v_lshl_add_u64 v[8:9], v[8:9], 0, v[86:87]
	s_andn2_b64 exec, exec, s[28:29]
	s_cbranch_execz .LBB2_189
.LBB2_24:                               ; =>This Loop Header: Depth=1
                                        ;     Child Loop BB2_29 Depth 2
                                        ;     Child Loop BB2_48 Depth 2
                                        ;     Child Loop BB2_61 Depth 2
                                        ;     Child Loop BB2_65 Depth 2
                                        ;     Child Loop BB2_69 Depth 2
                                        ;       Child Loop BB2_74 Depth 3
                                        ;       Child Loop BB2_93 Depth 3
	;; [unrolled: 1-line block ×3, first 2 shown]
                                        ;         Child Loop BB2_120 Depth 4
                                        ;       Child Loop BB2_135 Depth 3
                                        ;       Child Loop BB2_110 Depth 3
                                        ;     Child Loop BB2_151 Depth 2
                                        ;       Child Loop BB2_156 Depth 3
                                        ;     Child Loop BB2_177 Depth 2
	s_waitcnt vmcnt(0) lgkmcnt(0)
	flat_load_dword v3, v[70:71]
	v_sub_co_u32_e32 v4, vcc, v6, v112
	s_nop 1
	v_subb_co_u32_e32 v5, vcc, v7, v113, vcc
	v_cmp_lt_u64_e32 vcc, v[66:67], v[4:5]
	s_nop 1
	v_cndmask_b32_e32 v61, v4, v66, vcc
	s_and_saveexec_b64 s[16:17], s[2:3]
	s_cbranch_execz .LBB2_40
; %bb.25:                               ;   in Loop: Header=BB2_24 Depth=1
	v_lshl_add_u64 v[4:5], v[14:15], 0, 1
	v_lshl_add_u64 v[16:17], v[64:65], 0, 8
	v_cmp_lt_u64_e32 vcc, v[16:17], v[4:5]
	s_and_saveexec_b64 s[18:19], vcc
	s_cbranch_execz .LBB2_37
; %bb.26:                               ;   in Loop: Header=BB2_24 Depth=1
	s_mov_b32 s21, 0
	v_cmp_eq_u32_e32 vcc, 0, v60
	s_mov_b64 s[46:47], 0
                                        ; implicit-def: $sgpr56_sgpr57
                                        ; implicit-def: $sgpr58_sgpr59
                                        ; implicit-def: $sgpr60_sgpr61
	s_branch .LBB2_29
.LBB2_27:                               ;   in Loop: Header=BB2_29 Depth=2
	s_or_b64 exec, exec, s[78:79]
	s_andn2_b64 s[14:15], s[60:61], exec
	s_and_b64 s[60:61], s[74:75], exec
	s_or_b64 s[60:61], s[14:15], s[60:61]
	s_andn2_b64 s[14:15], s[58:59], exec
	s_and_b64 s[58:59], s[72:73], exec
	v_mov_b32_e32 v16, 0
	s_or_b64 s[58:59], s[14:15], s[58:59]
.LBB2_28:                               ;   in Loop: Header=BB2_29 Depth=2
	s_or_b64 exec, exec, s[62:63]
	s_and_b64 s[14:15], exec, s[58:59]
	s_or_b64 s[46:47], s[14:15], s[46:47]
	s_andn2_b64 s[14:15], s[56:57], exec
	s_and_b64 s[56:57], s[60:61], exec
	s_or_b64 s[56:57], s[14:15], s[56:57]
	s_andn2_b64 exec, exec, s[46:47]
	s_cbranch_execz .LBB2_34
.LBB2_29:                               ;   Parent Loop BB2_24 Depth=1
                                        ; =>  This Inner Loop Header: Depth=2
	s_sleep 1
	s_waitcnt vmcnt(0) lgkmcnt(0)
	flat_load_dwordx2 v[64:65], v[52:53] sc1
	s_or_b64 s[60:61], s[60:61], exec
	s_or_b64 s[58:59], s[58:59], exec
	v_mov_b32_e32 v16, v60
                                        ; implicit-def: $vgpr15
	s_and_saveexec_b64 s[62:63], vcc
	s_cbranch_execz .LBB2_28
; %bb.30:                               ;   in Loop: Header=BB2_29 Depth=2
	s_add_i32 s21, s21, 1
	s_cmpk_lg_i32 s21, 0x2710
	s_cselect_b64 s[76:77], -1, 0
	s_cmpk_eq_i32 s21, 0x2710
	s_mov_b64 s[72:73], -1
	s_mov_b64 s[74:75], -1
                                        ; implicit-def: $vgpr15
	s_cbranch_scc1 .LBB2_32
; %bb.31:                               ;   in Loop: Header=BB2_29 Depth=2
	s_and_saveexec_b64 s[78:79], s[76:77]
	s_cbranch_execz .LBB2_27
	s_branch .LBB2_33
.LBB2_32:                               ;   in Loop: Header=BB2_29 Depth=2
	s_trap 2
	ds_read_b64 v[16:17], v0
	s_andn2_b64 s[76:77], s[76:77], exec
	s_mov_b32 s21, 0
	s_mov_b64 s[74:75], 0
	s_waitcnt vmcnt(0) lgkmcnt(0)
	flat_load_dword v15, v[16:17] sc0 sc1
	s_waitcnt vmcnt(0) lgkmcnt(0)
	buffer_inv sc0 sc1
	v_cmp_eq_u32_e64 s[14:15], 0, v15
	s_and_b64 s[14:15], s[14:15], exec
	s_or_b64 s[76:77], s[76:77], s[14:15]
	s_and_saveexec_b64 s[78:79], s[76:77]
	s_cbranch_execz .LBB2_27
.LBB2_33:                               ;   in Loop: Header=BB2_29 Depth=2
	s_waitcnt vmcnt(0) lgkmcnt(0)
	v_lshl_add_u64 v[16:17], v[64:65], 0, 8
	v_cmp_ge_u64_e64 s[14:15], v[16:17], v[4:5]
	s_or_b64 s[74:75], s[74:75], exec
	s_orn2_b64 s[72:73], s[14:15], exec
	s_branch .LBB2_27
.LBB2_34:                               ;   in Loop: Header=BB2_24 Depth=1
	s_or_b64 exec, exec, s[46:47]
	s_xor_b64 s[14:15], s[56:57], -1
	s_and_saveexec_b64 s[46:47], s[14:15]
	s_xor_b64 s[14:15], exec, s[46:47]
	s_cbranch_execz .LBB2_36
; %bb.35:                               ;   in Loop: Header=BB2_24 Depth=1
	v_mov_b32_e32 v16, 1
	s_waitcnt lgkmcnt(0)
	ds_write_b32 v0, v15
	s_trap 2
.LBB2_36:                               ;   in Loop: Header=BB2_24 Depth=1
	s_or_b64 exec, exec, s[14:15]
	v_mov_b32_e32 v60, v16
.LBB2_37:                               ;   in Loop: Header=BB2_24 Depth=1
	s_or_b64 exec, exec, s[18:19]
	s_and_saveexec_b64 s[14:15], s[4:5]
	s_cbranch_execz .LBB2_39
; %bb.38:                               ;   in Loop: Header=BB2_24 Depth=1
	v_and_b32_e32 v16, 0x7ffffff8, v14
	v_mov_b32_e32 v17, v2
	v_cmp_eq_u64_e32 vcc, s[44:45], v[16:17]
	v_and_b32_e32 v14, 7, v14
	s_nop 0
	v_cndmask_b32_e32 v15, v61, v58, vcc
	v_lshlrev_b32_e32 v16, 4, v15
	v_ashrrev_i32_e32 v17, 31, v16
	v_mad_u64_u32 v[14:15], s[18:19], v14, 24, v[12:13]
	flat_store_dwordx2 v[14:15], v[16:17] offset:8 sc0 sc1
	s_waitcnt vmcnt(0)
.LBB2_39:                               ;   in Loop: Header=BB2_24 Depth=1
	s_or_b64 exec, exec, s[14:15]
	v_mov_b64_e32 v[14:15], v[4:5]
.LBB2_40:                               ;   in Loop: Header=BB2_24 Depth=1
	s_or_b64 exec, exec, s[16:17]
	s_and_saveexec_b64 s[14:15], s[6:7]
	s_cbranch_execz .LBB2_59
; %bb.41:                               ;   in Loop: Header=BB2_24 Depth=1
	s_and_saveexec_b64 s[16:17], s[40:41]
	s_xor_b64 s[16:17], exec, s[16:17]
	s_cbranch_execz .LBB2_56
; %bb.42:                               ;   in Loop: Header=BB2_24 Depth=1
	s_and_saveexec_b64 s[18:19], s[8:9]
	s_cbranch_execz .LBB2_55
; %bb.43:                               ;   in Loop: Header=BB2_24 Depth=1
	s_mov_b64 s[56:57], exec
	v_mbcnt_lo_u32_b32 v4, s56, 0
	v_mbcnt_hi_u32_b32 v4, s57, v4
	v_cmp_eq_u32_e32 vcc, 0, v4
	buffer_wbl2 sc1
	s_waitcnt vmcnt(0) lgkmcnt(0)
	buffer_inv sc1
	s_and_saveexec_b64 s[46:47], vcc
	s_cbranch_execz .LBB2_45
; %bb.44:                               ;   in Loop: Header=BB2_24 Depth=1
	s_bcnt1_i32_b64 s21, s[56:57]
	v_mov_b32_e32 v4, s21
	v_mov_b32_e32 v5, v2
	ds_add_u64 v0, v[4:5]
	s_trap 2
.LBB2_45:                               ;   in Loop: Header=BB2_24 Depth=1
	s_or_b64 exec, exec, s[46:47]
	s_trap 2
	ds_read_b64 v[4:5], v0
	s_waitcnt lgkmcnt(0)
	v_lshl_add_u64 v[54:55], v[54:55], 0, v[80:81]
	v_cmp_lt_u64_e32 vcc, v[4:5], v[54:55]
	s_and_saveexec_b64 s[46:47], vcc
	s_cbranch_execz .LBB2_54
; %bb.46:                               ;   in Loop: Header=BB2_24 Depth=1
	s_mov_b32 s21, 0
	s_mov_b64 s[56:57], 0
                                        ; implicit-def: $sgpr58_sgpr59
                                        ; implicit-def: $sgpr60_sgpr61
	s_branch .LBB2_48
.LBB2_47:                               ;   in Loop: Header=BB2_48 Depth=2
	s_or_b64 exec, exec, s[72:73]
	s_and_b64 s[62:63], exec, s[74:75]
	s_or_b64 s[56:57], s[62:63], s[56:57]
	s_andn2_b64 s[58:59], s[58:59], exec
	s_and_b64 s[62:63], s[60:61], exec
	s_or_b64 s[58:59], s[58:59], s[62:63]
	s_andn2_b64 exec, exec, s[56:57]
	s_cbranch_execz .LBB2_52
.LBB2_48:                               ;   Parent Loop BB2_24 Depth=1
                                        ; =>  This Inner Loop Header: Depth=2
	s_add_i32 s21, s21, 1
	s_cmpk_lg_i32 s21, 0x2710
	s_cselect_b64 s[62:63], -1, 0
	s_and_b64 vcc, exec, s[62:63]
	s_cbranch_vccz .LBB2_50
; %bb.49:                               ;   in Loop: Header=BB2_48 Depth=2
	s_mov_b64 s[74:75], -1
	s_or_b64 s[60:61], s[60:61], exec
	s_and_saveexec_b64 s[72:73], s[62:63]
	s_cbranch_execz .LBB2_47
	s_branch .LBB2_51
.LBB2_50:                               ;   in Loop: Header=BB2_48 Depth=2
	s_trap 2
	ds_read_b64 v[4:5], v0
	s_andn2_b64 s[62:63], s[62:63], exec
	s_mov_b32 s21, 0
	s_waitcnt lgkmcnt(0)
	flat_load_dword v4, v[4:5] sc0 sc1
	s_waitcnt vmcnt(0) lgkmcnt(0)
	buffer_inv sc0 sc1
	v_cmp_eq_u32_e32 vcc, 0, v4
	s_and_b64 s[72:73], vcc, exec
	s_or_b64 s[62:63], s[62:63], s[72:73]
	s_mov_b64 s[74:75], -1
	s_or_b64 s[60:61], s[60:61], exec
	s_and_saveexec_b64 s[72:73], s[62:63]
	s_cbranch_execz .LBB2_47
.LBB2_51:                               ;   in Loop: Header=BB2_48 Depth=2
	s_sleep 1
	s_trap 2
	ds_read_b64 v[4:5], v0
	s_waitcnt lgkmcnt(0)
	s_andn2_b64 s[60:61], s[60:61], exec
	v_cmp_ge_u64_e32 vcc, v[4:5], v[54:55]
	s_orn2_b64 s[74:75], vcc, exec
	s_branch .LBB2_47
.LBB2_52:                               ;   in Loop: Header=BB2_24 Depth=1
	s_or_b64 exec, exec, s[56:57]
	s_and_saveexec_b64 s[56:57], s[58:59]
	s_xor_b64 s[56:57], exec, s[56:57]
	s_cbranch_execz .LBB2_54
; %bb.53:                               ;   in Loop: Header=BB2_24 Depth=1
	ds_write_b32 v0, v59
	s_trap 2
.LBB2_54:                               ;   in Loop: Header=BB2_24 Depth=1
	s_or_b64 exec, exec, s[46:47]
	;;#ASMSTART
	s_wakeup
	;;#ASMEND
.LBB2_55:                               ;   in Loop: Header=BB2_24 Depth=1
	s_or_b64 exec, exec, s[18:19]
.LBB2_56:                               ;   in Loop: Header=BB2_24 Depth=1
	s_andn2_saveexec_b64 s[16:17], s[16:17]
	s_cbranch_execz .LBB2_58
; %bb.57:                               ;   in Loop: Header=BB2_24 Depth=1
	buffer_wbl2 sc1
	s_waitcnt vmcnt(0) lgkmcnt(0)
	buffer_inv sc1
	s_barrier
.LBB2_58:                               ;   in Loop: Header=BB2_24 Depth=1
	s_or_b64 exec, exec, s[16:17]
.LBB2_59:                               ;   in Loop: Header=BB2_24 Depth=1
	s_or_b64 exec, exec, s[14:15]
	v_sub_u32_e32 v62, v61, v0
	v_cmp_lt_i32_e64 s[14:15], 0, v62
	v_and_b32_e32 v115, 7, v20
	v_add_u32_e32 v17, 1, v20
	v_mov_b32_e32 v114, v0
	s_and_saveexec_b64 s[16:17], s[14:15]
	s_cbranch_execz .LBB2_63
; %bb.60:                               ;   in Loop: Header=BB2_24 Depth=1
	s_waitcnt vmcnt(0) lgkmcnt(0)
	v_ashrrev_i32_e32 v16, 31, v3
	v_mul_lo_u32 v18, v115, v58
	v_ashrrev_i32_e32 v19, 31, v18
	v_mad_u64_u32 v[4:5], s[18:19], v96, v3, v[8:9]
	v_mul_lo_u32 v3, v97, v3
	v_mul_lo_u32 v16, v96, v16
	v_add3_u32 v5, v3, v5, v16
	v_lshl_add_u64 v[116:117], v[18:19], 4, v[100:101]
	s_mov_b64 s[18:19], 0
	v_mov_b32_e32 v3, v62
	v_mov_b32_e32 v114, v0
.LBB2_61:                               ;   Parent Loop BB2_24 Depth=1
                                        ; =>  This Inner Loop Header: Depth=2
	global_load_dwordx2 v[118:119], v[4:5], off nt
	v_sub_u32_e32 v3, v3, v22
	v_mov_b32_e32 v19, v17
	v_cmp_gt_i32_e32 vcc, 1, v3
	v_add_u32_e32 v114, v114, v22
	v_lshl_add_u64 v[4:5], v[4:5], 0, v[98:99]
	s_or_b64 s[18:19], vcc, s[18:19]
	s_waitcnt vmcnt(0)
	v_mov_b32_e32 v16, v118
	v_mov_b32_e32 v18, v119
	global_store_dwordx4 v[116:117], v[16:19], off
	v_lshl_add_u64 v[116:117], v[116:117], 0, v[102:103]
	buffer_wbl2 sc0 sc1
	s_waitcnt vmcnt(0)
	s_andn2_b64 exec, exec, s[18:19]
	s_cbranch_execnz .LBB2_61
; %bb.62:                               ;   in Loop: Header=BB2_24 Depth=1
	s_or_b64 exec, exec, s[18:19]
.LBB2_63:                               ;   in Loop: Header=BB2_24 Depth=1
	s_or_b64 exec, exec, s[16:17]
	v_and_b32_e32 v4, 0x7ffffff8, v20
	v_mov_b32_e32 v5, v2
	v_cmp_eq_u64_e32 vcc, s[44:45], v[4:5]
	v_cmp_lt_i32_e64 s[16:17], v114, v58
	s_and_b64 s[18:19], vcc, s[16:17]
	s_and_saveexec_b64 s[16:17], s[18:19]
	s_cbranch_execz .LBB2_66
; %bb.64:                               ;   in Loop: Header=BB2_24 Depth=1
	v_mul_lo_u32 v4, v115, v58
	v_ashrrev_i32_e32 v5, 31, v4
	v_ashrrev_i32_e32 v115, 31, v114
	v_lshlrev_b64 v[4:5], 4, v[4:5]
	v_lshl_add_u64 v[4:5], v[114:115], 4, v[4:5]
	s_waitcnt vmcnt(0) lgkmcnt(0)
	v_mov_b32_e32 v3, v17
	v_lshl_add_u64 v[16:17], v[38:39], 0, v[4:5]
	s_mov_b64 s[18:19], 0
.LBB2_65:                               ;   Parent Loop BB2_24 Depth=1
                                        ; =>  This Inner Loop Header: Depth=2
	v_add_u32_e32 v114, v114, v22
	v_mov_b32_e32 v4, v2
	v_mov_b32_e32 v5, v3
	v_cmp_ge_i32_e32 vcc, v114, v58
	global_store_dwordx4 v[16:17], v[2:5], off
	s_or_b64 s[18:19], vcc, s[18:19]
	v_lshl_add_u64 v[16:17], v[16:17], 0, v[102:103]
	buffer_wbl2 sc0 sc1
	s_waitcnt vmcnt(0)
	s_andn2_b64 exec, exec, s[18:19]
	s_cbranch_execnz .LBB2_65
.LBB2_66:                               ;   in Loop: Header=BB2_24 Depth=1
	s_or_b64 exec, exec, s[16:17]
	v_lshl_add_u64 v[114:115], v[112:113], 0, v[26:27]
	s_andn2_b64 vcc, exec, s[42:43]
	v_lshl_add_u64 v[116:117], v[20:21], 0, 1
	s_cbranch_vccnz .LBB2_146
; %bb.67:                               ;   in Loop: Header=BB2_24 Depth=1
	v_lshl_add_u64 v[118:119], v[114:115], 3, v[82:83]
	v_add_u16_e32 v63, 1, v20
	s_mov_b32 s21, 2
	s_branch .LBB2_69
.LBB2_68:                               ;   in Loop: Header=BB2_69 Depth=2
	s_or_b64 exec, exec, s[16:17]
	s_add_i32 s21, s21, 1
	v_lshl_add_u64 v[36:37], v[36:37], 0, 1
	v_lshl_add_u64 v[116:117], v[116:117], 0, 1
	s_cmp_eq_u32 s21, s20
	v_add_u16_e32 v63, 1, v63
	s_cbranch_scc1 .LBB2_146
.LBB2_69:                               ;   Parent Loop BB2_24 Depth=1
                                        ; =>  This Loop Header: Depth=2
                                        ;       Child Loop BB2_74 Depth 3
                                        ;       Child Loop BB2_93 Depth 3
	;; [unrolled: 1-line block ×3, first 2 shown]
                                        ;         Child Loop BB2_120 Depth 4
                                        ;       Child Loop BB2_135 Depth 3
                                        ;       Child Loop BB2_110 Depth 3
	s_sub_i32 s26, s20, s21
	s_lshl_b64 s[16:17], s[26:27], 2
	v_lshl_add_u64 v[4:5], v[24:25], 0, s[16:17]
	s_waitcnt vmcnt(0) lgkmcnt(0)
	flat_load_dword v3, v[4:5]
	s_and_saveexec_b64 s[18:19], s[2:3]
	s_cbranch_execz .LBB2_85
; %bb.70:                               ;   in Loop: Header=BB2_69 Depth=2
	v_lshl_add_u64 v[4:5], v[14:15], 0, 1
	v_lshl_add_u64 v[16:17], v[64:65], 0, 8
	v_cmp_lt_u64_e32 vcc, v[16:17], v[4:5]
	s_and_saveexec_b64 s[46:47], vcc
	s_cbranch_execz .LBB2_82
; %bb.71:                               ;   in Loop: Header=BB2_69 Depth=2
	s_mov_b32 s26, 0
	v_cmp_eq_u32_e32 vcc, 0, v60
	s_mov_b64 s[56:57], 0
                                        ; implicit-def: $sgpr58_sgpr59
                                        ; implicit-def: $sgpr60_sgpr61
                                        ; implicit-def: $sgpr62_sgpr63
	s_branch .LBB2_74
.LBB2_72:                               ;   in Loop: Header=BB2_74 Depth=3
	s_or_b64 exec, exec, s[88:89]
	s_andn2_b64 s[16:17], s[62:63], exec
	s_and_b64 s[62:63], s[76:77], exec
	s_or_b64 s[62:63], s[16:17], s[62:63]
	s_andn2_b64 s[16:17], s[60:61], exec
	s_and_b64 s[60:61], s[74:75], exec
	v_mov_b32_e32 v16, 0
	s_or_b64 s[60:61], s[16:17], s[60:61]
.LBB2_73:                               ;   in Loop: Header=BB2_74 Depth=3
	s_or_b64 exec, exec, s[72:73]
	s_and_b64 s[16:17], exec, s[60:61]
	s_or_b64 s[56:57], s[16:17], s[56:57]
	s_andn2_b64 s[16:17], s[58:59], exec
	s_and_b64 s[58:59], s[62:63], exec
	s_or_b64 s[58:59], s[16:17], s[58:59]
	s_andn2_b64 exec, exec, s[56:57]
	s_cbranch_execz .LBB2_79
.LBB2_74:                               ;   Parent Loop BB2_24 Depth=1
                                        ;     Parent Loop BB2_69 Depth=2
                                        ; =>    This Inner Loop Header: Depth=3
	s_sleep 1
	s_waitcnt vmcnt(0) lgkmcnt(0)
	flat_load_dwordx2 v[64:65], v[52:53] sc1
	s_or_b64 s[62:63], s[62:63], exec
	s_or_b64 s[60:61], s[60:61], exec
	v_mov_b32_e32 v16, v60
                                        ; implicit-def: $vgpr15
	s_and_saveexec_b64 s[72:73], vcc
	s_cbranch_execz .LBB2_73
; %bb.75:                               ;   in Loop: Header=BB2_74 Depth=3
	s_add_i32 s26, s26, 1
	s_cmpk_lg_i32 s26, 0x2710
	s_cselect_b64 s[78:79], -1, 0
	s_cmpk_eq_i32 s26, 0x2710
	s_mov_b64 s[74:75], -1
	s_mov_b64 s[76:77], -1
                                        ; implicit-def: $vgpr15
	s_cbranch_scc1 .LBB2_77
; %bb.76:                               ;   in Loop: Header=BB2_74 Depth=3
	s_and_saveexec_b64 s[88:89], s[78:79]
	s_cbranch_execz .LBB2_72
	s_branch .LBB2_78
.LBB2_77:                               ;   in Loop: Header=BB2_74 Depth=3
	s_trap 2
	ds_read_b64 v[16:17], v0
	s_andn2_b64 s[78:79], s[78:79], exec
	s_mov_b32 s26, 0
	s_mov_b64 s[76:77], 0
	s_waitcnt vmcnt(0) lgkmcnt(0)
	flat_load_dword v15, v[16:17] sc0 sc1
	s_waitcnt vmcnt(0) lgkmcnt(0)
	buffer_inv sc0 sc1
	v_cmp_eq_u32_e64 s[16:17], 0, v15
	s_and_b64 s[16:17], s[16:17], exec
	s_or_b64 s[78:79], s[78:79], s[16:17]
	s_and_saveexec_b64 s[88:89], s[78:79]
	s_cbranch_execz .LBB2_72
.LBB2_78:                               ;   in Loop: Header=BB2_74 Depth=3
	s_waitcnt vmcnt(0) lgkmcnt(0)
	v_lshl_add_u64 v[16:17], v[64:65], 0, 8
	v_cmp_ge_u64_e64 s[16:17], v[16:17], v[4:5]
	s_or_b64 s[76:77], s[76:77], exec
	s_orn2_b64 s[74:75], s[16:17], exec
	s_branch .LBB2_72
.LBB2_79:                               ;   in Loop: Header=BB2_69 Depth=2
	s_or_b64 exec, exec, s[56:57]
	s_xor_b64 s[16:17], s[58:59], -1
	s_and_saveexec_b64 s[56:57], s[16:17]
	s_xor_b64 s[16:17], exec, s[56:57]
	s_cbranch_execz .LBB2_81
; %bb.80:                               ;   in Loop: Header=BB2_69 Depth=2
	v_mov_b32_e32 v16, 1
	s_waitcnt lgkmcnt(0)
	ds_write_b32 v0, v15
	s_trap 2
.LBB2_81:                               ;   in Loop: Header=BB2_69 Depth=2
	s_or_b64 exec, exec, s[16:17]
	v_mov_b32_e32 v60, v16
.LBB2_82:                               ;   in Loop: Header=BB2_69 Depth=2
	s_or_b64 exec, exec, s[46:47]
	s_and_saveexec_b64 s[16:17], s[4:5]
	s_cbranch_execz .LBB2_84
; %bb.83:                               ;   in Loop: Header=BB2_69 Depth=2
	v_and_b32_e32 v16, 0x7ffffff8, v14
	v_mov_b32_e32 v17, v2
	v_cmp_eq_u64_e32 vcc, s[44:45], v[16:17]
	v_and_b32_e32 v14, 7, v14
	s_nop 0
	v_cndmask_b32_e32 v15, v61, v58, vcc
	v_lshlrev_b32_e32 v16, 4, v15
	v_ashrrev_i32_e32 v17, 31, v16
	v_mad_u64_u32 v[14:15], s[46:47], v14, 24, v[12:13]
	flat_store_dwordx2 v[14:15], v[16:17] offset:8 sc0 sc1
	s_waitcnt vmcnt(0)
.LBB2_84:                               ;   in Loop: Header=BB2_69 Depth=2
	s_or_b64 exec, exec, s[16:17]
	v_mov_b64_e32 v[14:15], v[4:5]
.LBB2_85:                               ;   in Loop: Header=BB2_69 Depth=2
	s_or_b64 exec, exec, s[18:19]
	s_and_saveexec_b64 s[16:17], s[6:7]
	s_cbranch_execz .LBB2_104
; %bb.86:                               ;   in Loop: Header=BB2_69 Depth=2
	s_and_saveexec_b64 s[18:19], s[40:41]
	s_xor_b64 s[18:19], exec, s[18:19]
	s_cbranch_execz .LBB2_101
; %bb.87:                               ;   in Loop: Header=BB2_69 Depth=2
	s_and_saveexec_b64 s[46:47], s[8:9]
	s_cbranch_execz .LBB2_100
; %bb.88:                               ;   in Loop: Header=BB2_69 Depth=2
	s_mov_b64 s[58:59], exec
	v_mbcnt_lo_u32_b32 v4, s58, 0
	v_mbcnt_hi_u32_b32 v4, s59, v4
	v_cmp_eq_u32_e32 vcc, 0, v4
	buffer_wbl2 sc1
	s_waitcnt vmcnt(0) lgkmcnt(0)
	buffer_inv sc1
	s_and_saveexec_b64 s[56:57], vcc
	s_cbranch_execz .LBB2_90
; %bb.89:                               ;   in Loop: Header=BB2_69 Depth=2
	s_bcnt1_i32_b64 s26, s[58:59]
	v_mov_b32_e32 v4, s26
	v_mov_b32_e32 v5, v2
	ds_add_u64 v0, v[4:5]
	s_trap 2
.LBB2_90:                               ;   in Loop: Header=BB2_69 Depth=2
	s_or_b64 exec, exec, s[56:57]
	s_trap 2
	ds_read_b64 v[4:5], v0
	s_waitcnt lgkmcnt(0)
	v_lshl_add_u64 v[54:55], v[54:55], 0, v[80:81]
	v_cmp_lt_u64_e32 vcc, v[4:5], v[54:55]
	s_and_saveexec_b64 s[56:57], vcc
	s_cbranch_execz .LBB2_99
; %bb.91:                               ;   in Loop: Header=BB2_69 Depth=2
	s_mov_b32 s26, 0
	s_mov_b64 s[58:59], 0
                                        ; implicit-def: $sgpr60_sgpr61
                                        ; implicit-def: $sgpr62_sgpr63
	s_branch .LBB2_93
.LBB2_92:                               ;   in Loop: Header=BB2_93 Depth=3
	s_or_b64 exec, exec, s[74:75]
	s_and_b64 s[72:73], exec, s[76:77]
	s_or_b64 s[58:59], s[72:73], s[58:59]
	s_andn2_b64 s[60:61], s[60:61], exec
	s_and_b64 s[72:73], s[62:63], exec
	s_or_b64 s[60:61], s[60:61], s[72:73]
	s_andn2_b64 exec, exec, s[58:59]
	s_cbranch_execz .LBB2_97
.LBB2_93:                               ;   Parent Loop BB2_24 Depth=1
                                        ;     Parent Loop BB2_69 Depth=2
                                        ; =>    This Inner Loop Header: Depth=3
	s_add_i32 s26, s26, 1
	s_cmpk_lg_i32 s26, 0x2710
	s_cselect_b64 s[72:73], -1, 0
	s_and_b64 vcc, exec, s[72:73]
	s_cbranch_vccz .LBB2_95
; %bb.94:                               ;   in Loop: Header=BB2_93 Depth=3
	s_mov_b64 s[76:77], -1
	s_or_b64 s[62:63], s[62:63], exec
	s_and_saveexec_b64 s[74:75], s[72:73]
	s_cbranch_execz .LBB2_92
	s_branch .LBB2_96
.LBB2_95:                               ;   in Loop: Header=BB2_93 Depth=3
	s_trap 2
	ds_read_b64 v[4:5], v0
	s_andn2_b64 s[72:73], s[72:73], exec
	s_mov_b32 s26, 0
	s_waitcnt lgkmcnt(0)
	flat_load_dword v4, v[4:5] sc0 sc1
	s_waitcnt vmcnt(0) lgkmcnt(0)
	buffer_inv sc0 sc1
	v_cmp_eq_u32_e32 vcc, 0, v4
	s_and_b64 s[74:75], vcc, exec
	s_or_b64 s[72:73], s[72:73], s[74:75]
	s_mov_b64 s[76:77], -1
	s_or_b64 s[62:63], s[62:63], exec
	s_and_saveexec_b64 s[74:75], s[72:73]
	s_cbranch_execz .LBB2_92
.LBB2_96:                               ;   in Loop: Header=BB2_93 Depth=3
	s_sleep 1
	s_trap 2
	ds_read_b64 v[4:5], v0
	s_waitcnt lgkmcnt(0)
	s_andn2_b64 s[62:63], s[62:63], exec
	v_cmp_ge_u64_e32 vcc, v[4:5], v[54:55]
	s_orn2_b64 s[76:77], vcc, exec
	s_branch .LBB2_92
.LBB2_97:                               ;   in Loop: Header=BB2_69 Depth=2
	s_or_b64 exec, exec, s[58:59]
	s_and_saveexec_b64 s[58:59], s[60:61]
	s_xor_b64 s[58:59], exec, s[58:59]
	s_cbranch_execz .LBB2_99
; %bb.98:                               ;   in Loop: Header=BB2_69 Depth=2
	ds_write_b32 v0, v59
	s_trap 2
.LBB2_99:                               ;   in Loop: Header=BB2_69 Depth=2
	s_or_b64 exec, exec, s[56:57]
	;;#ASMSTART
	s_wakeup
	;;#ASMEND
.LBB2_100:                              ;   in Loop: Header=BB2_69 Depth=2
	s_or_b64 exec, exec, s[46:47]
.LBB2_101:                              ;   in Loop: Header=BB2_69 Depth=2
	s_andn2_saveexec_b64 s[18:19], s[18:19]
	s_cbranch_execz .LBB2_103
; %bb.102:                              ;   in Loop: Header=BB2_69 Depth=2
	buffer_wbl2 sc1
	s_waitcnt vmcnt(0) lgkmcnt(0)
	buffer_inv sc1
	s_barrier
.LBB2_103:                              ;   in Loop: Header=BB2_69 Depth=2
	s_or_b64 exec, exec, s[18:19]
.LBB2_104:                              ;   in Loop: Header=BB2_69 Depth=2
	s_or_b64 exec, exec, s[16:17]
	v_add_u32_e32 v17, 1, v116
	v_mov_b32_e32 v40, v0
	s_and_saveexec_b64 s[46:47], s[14:15]
	s_cbranch_execnz .LBB2_111
; %bb.105:                              ;   in Loop: Header=BB2_69 Depth=2
	s_or_b64 exec, exec, s[46:47]
	s_and_saveexec_b64 s[16:17], s[6:7]
	s_cbranch_execnz .LBB2_128
.LBB2_106:                              ;   in Loop: Header=BB2_69 Depth=2
	s_or_b64 exec, exec, s[16:17]
	s_and_saveexec_b64 s[16:17], s[10:11]
	s_cbranch_execz .LBB2_108
.LBB2_107:                              ;   in Loop: Header=BB2_69 Depth=2
	v_lshl_add_u64 v[48:49], v[48:49], 0, 1
	flat_store_dwordx2 v[50:51], v[48:49] sc0 sc1
.LBB2_108:                              ;   in Loop: Header=BB2_69 Depth=2
	s_or_b64 exec, exec, s[16:17]
	v_and_b32_e32 v4, 0x7ffffff8, v116
	v_mov_b32_e32 v5, v2
	v_cmp_eq_u64_e32 vcc, s[44:45], v[4:5]
	v_cmp_lt_i32_e64 s[16:17], v40, v58
	s_and_b64 s[18:19], vcc, s[16:17]
	s_and_saveexec_b64 s[16:17], s[18:19]
	s_cbranch_execz .LBB2_68
; %bb.109:                              ;   in Loop: Header=BB2_69 Depth=2
	s_waitcnt vmcnt(0) lgkmcnt(0)
	v_and_b32_e32 v3, 7, v63
	v_mul_lo_u32 v4, v58, v3
	v_ashrrev_i32_e32 v5, 31, v4
	v_lshlrev_b64 v[4:5], 4, v[4:5]
	v_ashrrev_i32_e32 v41, 31, v40
	v_lshl_add_u64 v[4:5], v[40:41], 4, v[4:5]
	v_mov_b32_e32 v3, v17
	v_lshl_add_u64 v[16:17], v[38:39], 0, v[4:5]
	s_mov_b64 s[18:19], 0
.LBB2_110:                              ;   Parent Loop BB2_24 Depth=1
                                        ;     Parent Loop BB2_69 Depth=2
                                        ; =>    This Inner Loop Header: Depth=3
	v_add_u32_e32 v40, v40, v22
	v_mov_b32_e32 v4, v2
	v_mov_b32_e32 v5, v3
	v_cmp_ge_i32_e32 vcc, v40, v58
	global_store_dwordx4 v[16:17], v[2:5], off
	s_or_b64 s[18:19], vcc, s[18:19]
	v_lshl_add_u64 v[16:17], v[16:17], 0, v[102:103]
	buffer_wbl2 sc0 sc1
	s_waitcnt vmcnt(0)
	s_andn2_b64 exec, exec, s[18:19]
	s_cbranch_execnz .LBB2_110
	s_branch .LBB2_68
.LBB2_111:                              ;   in Loop: Header=BB2_69 Depth=2
	s_waitcnt vmcnt(0) lgkmcnt(0)
	v_ashrrev_i32_e32 v4, 31, v3
	v_mul_lo_u32 v16, v69, v3
	v_mul_lo_u32 v18, v68, v4
	v_mad_u64_u32 v[4:5], s[16:17], v68, v3, 0
	v_and_b32_e32 v3, 7, v36
	v_add3_u32 v5, v5, v18, v16
	v_mul_lo_u32 v18, v3, v58
	v_ashrrev_i32_e32 v19, 31, v18
	v_and_b32_e32 v16, 7, v116
	v_lshl_add_u64 v[42:43], v[18:19], 4, v[34:35]
	v_mul_lo_u32 v18, v16, v58
	v_ashrrev_i32_e32 v19, 31, v18
	v_lshl_add_u64 v[4:5], v[4:5], 3, v[118:119]
	v_add_u32_e32 v3, 1, v36
	v_lshl_add_u64 v[44:45], v[18:19], 4, v[38:39]
	s_mov_b64 s[56:57], 0
	v_mov_b32_e32 v73, v60
	v_mov_b32_e32 v72, v62
	;; [unrolled: 1-line block ×3, first 2 shown]
	s_branch .LBB2_115
.LBB2_112:                              ;   in Loop: Header=BB2_115 Depth=3
	s_or_b64 exec, exec, s[16:17]
.LBB2_113:                              ;   in Loop: Header=BB2_115 Depth=3
	s_or_b64 exec, exec, s[60:61]
.LBB2_114:                              ;   in Loop: Header=BB2_115 Depth=3
	s_or_b64 exec, exec, s[58:59]
	s_waitcnt vmcnt(0)
	v_mov_b32_e32 v19, v20
	v_sub_u32_e32 v72, v72, v22
	v_mul_f64 v[18:19], v[46:47], v[18:19]
	v_cmp_gt_i32_e32 vcc, 1, v72
	v_lshl_add_u64 v[4:5], v[22:23], 3, v[4:5]
	v_lshl_add_u64 v[20:21], v[40:41], 4, v[44:45]
	v_mov_b32_e32 v16, v18
	v_mov_b32_e32 v18, v19
	;; [unrolled: 1-line block ×3, first 2 shown]
	s_or_b64 s[56:57], vcc, s[56:57]
	v_add_u32_e32 v40, v40, v22
	global_store_dwordx4 v[20:21], v[16:19], off
	buffer_wbl2 sc0 sc1
	s_waitcnt vmcnt(0) lgkmcnt(0)
	s_andn2_b64 exec, exec, s[56:57]
	s_cbranch_execz .LBB2_127
.LBB2_115:                              ;   Parent Loop BB2_24 Depth=1
                                        ;     Parent Loop BB2_69 Depth=2
                                        ; =>    This Loop Header: Depth=3
                                        ;         Child Loop BB2_120 Depth 4
	v_ashrrev_i32_e32 v41, 31, v40
	v_lshl_add_u64 v[56:57], v[40:41], 4, v[42:43]
	global_load_dwordx2 v[46:47], v[4:5], off nt
	global_load_dwordx4 v[18:21], v[56:57], off nt
	v_cmp_eq_u32_e32 vcc, 0, v73
	s_and_saveexec_b64 s[58:59], vcc
	s_cbranch_execz .LBB2_114
; %bb.116:                              ;   in Loop: Header=BB2_115 Depth=3
	s_waitcnt vmcnt(0)
	v_cmp_ne_u32_e32 vcc, v3, v19
	v_cmp_ne_u32_e64 s[16:17], v3, v21
	s_or_b64 s[16:17], vcc, s[16:17]
	v_mov_b32_e32 v73, 0
	s_and_saveexec_b64 s[60:61], s[16:17]
	s_cbranch_execz .LBB2_113
; %bb.117:                              ;   in Loop: Header=BB2_115 Depth=3
	v_mov_b32_e32 v73, 0
	v_cmp_eq_u32_e64 s[16:17], 0, v60
	s_mov_b32 s26, 1
	s_mov_b64 s[72:73], 0
                                        ; implicit-def: $sgpr62_sgpr63
                                        ; implicit-def: $sgpr74_sgpr75
	s_branch .LBB2_120
.LBB2_118:                              ;   in Loop: Header=BB2_120 Depth=4
	s_or_b64 exec, exec, s[76:77]
	s_andn2_b64 s[74:75], s[74:75], exec
	s_orn2_b64 s[18:19], s[18:19], exec
.LBB2_119:                              ;   in Loop: Header=BB2_120 Depth=4
	s_or_b64 exec, exec, s[88:89]
	s_and_b64 s[18:19], exec, s[18:19]
	s_or_b64 s[72:73], s[18:19], s[72:73]
	s_andn2_b64 s[18:19], s[62:63], exec
	s_and_b64 s[62:63], s[74:75], exec
	s_or_b64 s[62:63], s[18:19], s[62:63]
	s_andn2_b64 exec, exec, s[72:73]
	s_cbranch_execz .LBB2_125
.LBB2_120:                              ;   Parent Loop BB2_24 Depth=1
                                        ;     Parent Loop BB2_69 Depth=2
                                        ;       Parent Loop BB2_115 Depth=3
                                        ; =>      This Inner Loop Header: Depth=4
	global_load_dwordx4 v[18:21], v[56:57], off nt
	s_add_i32 s26, s26, 1
	s_cmpk_lg_i32 s26, 0x2710
	s_cselect_b64 s[76:77], -1, 0
	s_mov_b64 s[18:19], -1
	s_and_b64 vcc, exec, s[76:77]
	s_mov_b64 s[78:79], -1
                                        ; implicit-def: $vgpr16
	s_cbranch_vccz .LBB2_122
; %bb.121:                              ;   in Loop: Header=BB2_120 Depth=4
	s_or_b64 s[74:75], s[74:75], exec
	s_and_saveexec_b64 s[88:89], s[76:77]
	s_cbranch_execz .LBB2_119
	s_branch .LBB2_123
.LBB2_122:                              ;   in Loop: Header=BB2_120 Depth=4
	s_trap 2
	ds_read_b64 v[74:75], v0
	s_andn2_b64 s[76:77], s[76:77], exec
	s_mov_b32 s26, 0
	s_orn2_b64 s[78:79], s[16:17], exec
	v_mov_b32_e32 v73, v60
	s_waitcnt vmcnt(0) lgkmcnt(0)
	flat_load_dword v16, v[74:75] sc0 sc1
	s_waitcnt vmcnt(0) lgkmcnt(0)
	buffer_inv sc0 sc1
	v_cmp_eq_u32_e32 vcc, 0, v16
	s_and_b64 s[88:89], vcc, exec
	s_or_b64 s[76:77], s[76:77], s[88:89]
	s_or_b64 s[74:75], s[74:75], exec
	s_and_saveexec_b64 s[88:89], s[76:77]
	s_cbranch_execz .LBB2_119
.LBB2_123:                              ;   in Loop: Header=BB2_120 Depth=4
	s_and_saveexec_b64 s[76:77], s[78:79]
	s_cbranch_execz .LBB2_118
; %bb.124:                              ;   in Loop: Header=BB2_120 Depth=4
	s_waitcnt vmcnt(0)
	v_cmp_eq_u32_e32 vcc, v3, v19
	v_cmp_eq_u32_e64 s[18:19], v3, v21
	s_and_b64 s[18:19], vcc, s[18:19]
	s_orn2_b64 s[18:19], s[18:19], exec
	s_branch .LBB2_118
.LBB2_125:                              ;   in Loop: Header=BB2_115 Depth=3
	s_or_b64 exec, exec, s[72:73]
	s_and_saveexec_b64 s[16:17], s[62:63]
	s_xor_b64 s[16:17], exec, s[16:17]
	s_cbranch_execz .LBB2_112
; %bb.126:                              ;   in Loop: Header=BB2_115 Depth=3
	v_or_b32_e32 v73, 1, v60
	v_mov_b32_e32 v60, v73
	ds_write_b32 v0, v16
	s_trap 2
	s_branch .LBB2_112
.LBB2_127:                              ;   in Loop: Header=BB2_69 Depth=2
	s_or_b64 exec, exec, s[56:57]
	s_or_b64 exec, exec, s[46:47]
	s_and_saveexec_b64 s[16:17], s[6:7]
	s_cbranch_execz .LBB2_106
.LBB2_128:                              ;   in Loop: Header=BB2_69 Depth=2
	s_and_saveexec_b64 s[18:19], s[40:41]
	s_xor_b64 s[18:19], exec, s[18:19]
	s_cbranch_execz .LBB2_143
; %bb.129:                              ;   in Loop: Header=BB2_69 Depth=2
	s_and_saveexec_b64 s[46:47], s[8:9]
	s_cbranch_execz .LBB2_142
; %bb.130:                              ;   in Loop: Header=BB2_69 Depth=2
	s_mov_b64 s[58:59], exec
	s_waitcnt vmcnt(0) lgkmcnt(0)
	v_mbcnt_lo_u32_b32 v3, s58, 0
	v_mbcnt_hi_u32_b32 v3, s59, v3
	v_cmp_eq_u32_e32 vcc, 0, v3
	buffer_wbl2 sc1
	buffer_inv sc1
	s_and_saveexec_b64 s[56:57], vcc
	s_cbranch_execz .LBB2_132
; %bb.131:                              ;   in Loop: Header=BB2_69 Depth=2
	s_bcnt1_i32_b64 s26, s[58:59]
	v_mov_b32_e32 v4, s26
	v_mov_b32_e32 v5, v2
	ds_add_u64 v0, v[4:5]
	s_trap 2
.LBB2_132:                              ;   in Loop: Header=BB2_69 Depth=2
	s_or_b64 exec, exec, s[56:57]
	s_trap 2
	ds_read_b64 v[4:5], v0
	s_waitcnt lgkmcnt(0)
	v_lshl_add_u64 v[54:55], v[54:55], 0, v[80:81]
	v_cmp_lt_u64_e32 vcc, v[4:5], v[54:55]
	s_and_saveexec_b64 s[56:57], vcc
	s_cbranch_execz .LBB2_141
; %bb.133:                              ;   in Loop: Header=BB2_69 Depth=2
	s_mov_b32 s26, 0
	s_mov_b64 s[58:59], 0
                                        ; implicit-def: $sgpr60_sgpr61
                                        ; implicit-def: $sgpr62_sgpr63
	s_branch .LBB2_135
.LBB2_134:                              ;   in Loop: Header=BB2_135 Depth=3
	s_or_b64 exec, exec, s[74:75]
	s_and_b64 s[72:73], exec, s[76:77]
	s_or_b64 s[58:59], s[72:73], s[58:59]
	s_andn2_b64 s[60:61], s[60:61], exec
	s_and_b64 s[72:73], s[62:63], exec
	s_or_b64 s[60:61], s[60:61], s[72:73]
	s_andn2_b64 exec, exec, s[58:59]
	s_cbranch_execz .LBB2_139
.LBB2_135:                              ;   Parent Loop BB2_24 Depth=1
                                        ;     Parent Loop BB2_69 Depth=2
                                        ; =>    This Inner Loop Header: Depth=3
	s_add_i32 s26, s26, 1
	s_cmpk_lg_i32 s26, 0x2710
	s_cselect_b64 s[72:73], -1, 0
	s_and_b64 vcc, exec, s[72:73]
	s_cbranch_vccz .LBB2_137
; %bb.136:                              ;   in Loop: Header=BB2_135 Depth=3
	s_mov_b64 s[76:77], -1
	s_or_b64 s[62:63], s[62:63], exec
	s_and_saveexec_b64 s[74:75], s[72:73]
	s_cbranch_execz .LBB2_134
	s_branch .LBB2_138
.LBB2_137:                              ;   in Loop: Header=BB2_135 Depth=3
	s_trap 2
	ds_read_b64 v[4:5], v0
	s_andn2_b64 s[72:73], s[72:73], exec
	s_mov_b32 s26, 0
	s_waitcnt lgkmcnt(0)
	flat_load_dword v3, v[4:5] sc0 sc1
	s_waitcnt vmcnt(0) lgkmcnt(0)
	buffer_inv sc0 sc1
	v_cmp_eq_u32_e32 vcc, 0, v3
	s_and_b64 s[74:75], vcc, exec
	s_or_b64 s[72:73], s[72:73], s[74:75]
	s_mov_b64 s[76:77], -1
	s_or_b64 s[62:63], s[62:63], exec
	s_and_saveexec_b64 s[74:75], s[72:73]
	s_cbranch_execz .LBB2_134
.LBB2_138:                              ;   in Loop: Header=BB2_135 Depth=3
	s_sleep 1
	s_trap 2
	ds_read_b64 v[4:5], v0
	s_waitcnt lgkmcnt(0)
	s_andn2_b64 s[62:63], s[62:63], exec
	v_cmp_ge_u64_e32 vcc, v[4:5], v[54:55]
	s_orn2_b64 s[76:77], vcc, exec
	s_branch .LBB2_134
.LBB2_139:                              ;   in Loop: Header=BB2_69 Depth=2
	s_or_b64 exec, exec, s[58:59]
	s_and_saveexec_b64 s[58:59], s[60:61]
	s_xor_b64 s[58:59], exec, s[58:59]
	s_cbranch_execz .LBB2_141
; %bb.140:                              ;   in Loop: Header=BB2_69 Depth=2
	ds_write_b32 v0, v59
	s_trap 2
.LBB2_141:                              ;   in Loop: Header=BB2_69 Depth=2
	s_or_b64 exec, exec, s[56:57]
	;;#ASMSTART
	s_wakeup
	;;#ASMEND
.LBB2_142:                              ;   in Loop: Header=BB2_69 Depth=2
	s_or_b64 exec, exec, s[46:47]
.LBB2_143:                              ;   in Loop: Header=BB2_69 Depth=2
	s_andn2_saveexec_b64 s[18:19], s[18:19]
	s_cbranch_execz .LBB2_145
; %bb.144:                              ;   in Loop: Header=BB2_69 Depth=2
	buffer_wbl2 sc1
	s_waitcnt vmcnt(0) lgkmcnt(0)
	buffer_inv sc1
	s_barrier
.LBB2_145:                              ;   in Loop: Header=BB2_69 Depth=2
	s_or_b64 exec, exec, s[18:19]
	s_or_b64 exec, exec, s[16:17]
	s_and_saveexec_b64 s[16:17], s[10:11]
	s_cbranch_execnz .LBB2_107
	s_branch .LBB2_108
.LBB2_146:                              ;   in Loop: Header=BB2_24 Depth=1
	v_mov_b64_e32 v[20:21], v[116:117]
	s_and_saveexec_b64 s[18:19], s[14:15]
	s_cbranch_execnz .LBB2_149
; %bb.147:                              ;   in Loop: Header=BB2_24 Depth=1
	s_or_b64 exec, exec, s[18:19]
	s_and_saveexec_b64 s[14:15], s[6:7]
	s_cbranch_execnz .LBB2_170
.LBB2_148:                              ;   in Loop: Header=BB2_24 Depth=1
	s_or_b64 exec, exec, s[14:15]
	s_and_saveexec_b64 s[14:15], s[10:11]
	s_cbranch_execz .LBB2_23
	s_branch .LBB2_188
.LBB2_149:                              ;   in Loop: Header=BB2_24 Depth=1
	flat_load_dword v116, v[24:25]
	v_and_b32_e32 v18, 7, v36
	v_mul_lo_u32 v18, v18, v58
	v_ashrrev_i32_e32 v19, 31, v18
	v_lshlrev_b64 v[4:5], 3, v[114:115]
	v_lshl_add_u64 v[114:115], v[18:19], 4, v[34:35]
	v_lshl_add_u64 v[16:17], v[10:11], 0, v[4:5]
	s_waitcnt vmcnt(0) lgkmcnt(0)
	v_add_u32_e32 v3, 1, v36
	s_mov_b64 s[46:47], 0
	v_mov_b32_e32 v44, v60
	v_lshl_add_u64 v[4:5], v[84:85], 0, v[4:5]
	v_ashrrev_i32_e32 v117, 31, v116
	v_mul_lo_u32 v118, v69, v116
	v_mad_u64_u32 v[18:19], s[14:15], v68, v116, 0
	v_mul_lo_u32 v116, v68, v117
	v_add3_u32 v19, v19, v116, v118
	v_lshl_add_u64 v[16:17], v[18:19], 3, v[16:17]
	v_lshl_add_u64 v[116:117], v[0:1], 3, v[16:17]
	v_mov_b32_e32 v118, v0
	s_branch .LBB2_151
.LBB2_150:                              ;   in Loop: Header=BB2_151 Depth=2
	v_sub_u32_e32 v62, v62, v22
	v_cmp_gt_i32_e32 vcc, 1, v62
	v_lshl_add_u64 v[116:117], v[116:117], 0, v[98:99]
	v_lshl_add_u64 v[4:5], v[4:5], 0, v[98:99]
	s_or_b64 s[46:47], vcc, s[46:47]
	v_add_u32_e32 v118, v118, v22
	s_andn2_b64 exec, exec, s[46:47]
	s_cbranch_execz .LBB2_169
.LBB2_151:                              ;   Parent Loop BB2_24 Depth=1
                                        ; =>  This Loop Header: Depth=2
                                        ;       Child Loop BB2_156 Depth 3
	v_ashrrev_i32_e32 v119, 31, v118
	v_lshl_add_u64 v[42:43], v[118:119], 4, v[114:115]
	global_load_dwordx2 v[40:41], v[116:117], off nt
	global_load_dwordx4 v[16:19], v[42:43], off nt
	v_cmp_eq_u32_e32 vcc, 0, v44
	s_and_saveexec_b64 s[56:57], vcc
	s_cbranch_execz .LBB2_165
; %bb.152:                              ;   in Loop: Header=BB2_151 Depth=2
	s_waitcnt vmcnt(0)
	v_cmp_ne_u32_e32 vcc, v3, v17
	v_cmp_ne_u32_e64 s[14:15], v3, v19
	s_or_b64 s[14:15], vcc, s[14:15]
	v_mov_b32_e32 v44, 0
	s_and_saveexec_b64 s[58:59], s[14:15]
	s_cbranch_execz .LBB2_164
; %bb.153:                              ;   in Loop: Header=BB2_151 Depth=2
	v_mov_b32_e32 v44, 0
	v_cmp_eq_u32_e64 s[14:15], 0, v60
	s_mov_b32 s21, 1
	s_mov_b64 s[62:63], 0
                                        ; implicit-def: $sgpr60_sgpr61
                                        ; implicit-def: $sgpr72_sgpr73
	s_branch .LBB2_156
.LBB2_154:                              ;   in Loop: Header=BB2_156 Depth=3
	s_or_b64 exec, exec, s[74:75]
	s_andn2_b64 s[72:73], s[72:73], exec
	s_orn2_b64 s[16:17], s[16:17], exec
.LBB2_155:                              ;   in Loop: Header=BB2_156 Depth=3
	s_or_b64 exec, exec, s[78:79]
	s_and_b64 s[16:17], exec, s[16:17]
	s_or_b64 s[62:63], s[16:17], s[62:63]
	s_andn2_b64 s[16:17], s[60:61], exec
	s_and_b64 s[60:61], s[72:73], exec
	s_or_b64 s[60:61], s[16:17], s[60:61]
	s_andn2_b64 exec, exec, s[62:63]
	s_cbranch_execz .LBB2_161
.LBB2_156:                              ;   Parent Loop BB2_24 Depth=1
                                        ;     Parent Loop BB2_151 Depth=2
                                        ; =>    This Inner Loop Header: Depth=3
	global_load_dwordx4 v[16:19], v[42:43], off nt
	s_add_i32 s21, s21, 1
	s_cmpk_lg_i32 s21, 0x2710
	s_cselect_b64 s[74:75], -1, 0
	s_mov_b64 s[16:17], -1
	s_and_b64 vcc, exec, s[74:75]
	s_mov_b64 s[76:77], -1
                                        ; implicit-def: $vgpr119
	s_cbranch_vccz .LBB2_158
; %bb.157:                              ;   in Loop: Header=BB2_156 Depth=3
	s_or_b64 s[72:73], s[72:73], exec
	s_and_saveexec_b64 s[78:79], s[74:75]
	s_cbranch_execz .LBB2_155
	s_branch .LBB2_159
.LBB2_158:                              ;   in Loop: Header=BB2_156 Depth=3
	s_trap 2
	ds_read_b64 v[44:45], v0
	s_andn2_b64 s[74:75], s[74:75], exec
	s_mov_b32 s21, 0
	s_orn2_b64 s[76:77], s[14:15], exec
	s_waitcnt vmcnt(0) lgkmcnt(0)
	flat_load_dword v119, v[44:45] sc0 sc1
	s_waitcnt vmcnt(0) lgkmcnt(0)
	buffer_inv sc0 sc1
	v_mov_b32_e32 v44, v60
	v_cmp_eq_u32_e32 vcc, 0, v119
	s_and_b64 s[78:79], vcc, exec
	s_or_b64 s[74:75], s[74:75], s[78:79]
	s_or_b64 s[72:73], s[72:73], exec
	s_and_saveexec_b64 s[78:79], s[74:75]
	s_cbranch_execz .LBB2_155
.LBB2_159:                              ;   in Loop: Header=BB2_156 Depth=3
	s_and_saveexec_b64 s[74:75], s[76:77]
	s_cbranch_execz .LBB2_154
; %bb.160:                              ;   in Loop: Header=BB2_156 Depth=3
	s_waitcnt vmcnt(0)
	v_cmp_eq_u32_e32 vcc, v3, v17
	v_cmp_eq_u32_e64 s[16:17], v3, v19
	s_and_b64 s[16:17], vcc, s[16:17]
	s_orn2_b64 s[16:17], s[16:17], exec
	s_branch .LBB2_154
.LBB2_161:                              ;   in Loop: Header=BB2_151 Depth=2
	s_or_b64 exec, exec, s[62:63]
	s_and_saveexec_b64 s[14:15], s[60:61]
	s_xor_b64 s[14:15], exec, s[14:15]
	s_cbranch_execz .LBB2_163
; %bb.162:                              ;   in Loop: Header=BB2_151 Depth=2
	v_or_b32_e32 v44, 1, v60
	v_mov_b32_e32 v60, v44
	ds_write_b32 v0, v119
	s_trap 2
.LBB2_163:                              ;   in Loop: Header=BB2_151 Depth=2
	s_or_b64 exec, exec, s[14:15]
.LBB2_164:                              ;   in Loop: Header=BB2_151 Depth=2
	s_or_b64 exec, exec, s[58:59]
.LBB2_165:                              ;   in Loop: Header=BB2_151 Depth=2
	s_or_b64 exec, exec, s[56:57]
	s_waitcnt vmcnt(0)
	v_mov_b32_e32 v17, v18
	v_cndmask_b32_e64 v18, 0, 1, s[12:13]
	v_cmp_ne_u32_e32 vcc, 0, v18
	v_mul_f64 v[16:17], v[40:41], v[16:17]
	s_cmp_eq_u64 vcc, exec
	s_mov_b64 s[14:15], -1
	s_cbranch_scc1 .LBB2_167
; %bb.166:                              ;   in Loop: Header=BB2_151 Depth=2
	s_mov_b64 s[14:15], 0
	flat_store_dwordx2 v[4:5], v[16:17]
.LBB2_167:                              ;   in Loop: Header=BB2_151 Depth=2
	s_andn2_b64 vcc, exec, s[14:15]
	s_cbranch_vccnz .LBB2_150
; %bb.168:                              ;   in Loop: Header=BB2_151 Depth=2
	global_store_dwordx2 v[4:5], v[16:17], off
	s_branch .LBB2_150
.LBB2_169:                              ;   in Loop: Header=BB2_24 Depth=1
	s_or_b64 exec, exec, s[46:47]
	s_or_b64 exec, exec, s[18:19]
	s_and_saveexec_b64 s[14:15], s[6:7]
	s_cbranch_execz .LBB2_148
.LBB2_170:                              ;   in Loop: Header=BB2_24 Depth=1
	s_and_saveexec_b64 s[16:17], s[40:41]
	s_xor_b64 s[16:17], exec, s[16:17]
	s_cbranch_execz .LBB2_185
; %bb.171:                              ;   in Loop: Header=BB2_24 Depth=1
	s_and_saveexec_b64 s[18:19], s[8:9]
	s_cbranch_execz .LBB2_184
; %bb.172:                              ;   in Loop: Header=BB2_24 Depth=1
	s_mov_b64 s[56:57], exec
	s_waitcnt vmcnt(0) lgkmcnt(0)
	v_mbcnt_lo_u32_b32 v3, s56, 0
	v_mbcnt_hi_u32_b32 v3, s57, v3
	v_cmp_eq_u32_e32 vcc, 0, v3
	buffer_wbl2 sc1
	buffer_inv sc1
	s_and_saveexec_b64 s[46:47], vcc
	s_cbranch_execz .LBB2_174
; %bb.173:                              ;   in Loop: Header=BB2_24 Depth=1
	s_bcnt1_i32_b64 s21, s[56:57]
	v_mov_b32_e32 v4, s21
	v_mov_b32_e32 v5, v2
	ds_add_u64 v0, v[4:5]
	s_trap 2
.LBB2_174:                              ;   in Loop: Header=BB2_24 Depth=1
	s_or_b64 exec, exec, s[46:47]
	s_trap 2
	ds_read_b64 v[4:5], v0
	s_waitcnt lgkmcnt(0)
	v_lshl_add_u64 v[54:55], v[54:55], 0, v[80:81]
	v_cmp_lt_u64_e32 vcc, v[4:5], v[54:55]
	s_and_saveexec_b64 s[46:47], vcc
	s_cbranch_execz .LBB2_183
; %bb.175:                              ;   in Loop: Header=BB2_24 Depth=1
	s_mov_b32 s21, 0
	s_mov_b64 s[56:57], 0
                                        ; implicit-def: $sgpr58_sgpr59
                                        ; implicit-def: $sgpr60_sgpr61
	s_branch .LBB2_177
.LBB2_176:                              ;   in Loop: Header=BB2_177 Depth=2
	s_or_b64 exec, exec, s[72:73]
	s_and_b64 s[62:63], exec, s[74:75]
	s_or_b64 s[56:57], s[62:63], s[56:57]
	s_andn2_b64 s[58:59], s[58:59], exec
	s_and_b64 s[62:63], s[60:61], exec
	s_or_b64 s[58:59], s[58:59], s[62:63]
	s_andn2_b64 exec, exec, s[56:57]
	s_cbranch_execz .LBB2_181
.LBB2_177:                              ;   Parent Loop BB2_24 Depth=1
                                        ; =>  This Inner Loop Header: Depth=2
	s_add_i32 s21, s21, 1
	s_cmpk_lg_i32 s21, 0x2710
	s_cselect_b64 s[62:63], -1, 0
	s_and_b64 vcc, exec, s[62:63]
	s_cbranch_vccz .LBB2_179
; %bb.178:                              ;   in Loop: Header=BB2_177 Depth=2
	s_mov_b64 s[74:75], -1
	s_or_b64 s[60:61], s[60:61], exec
	s_and_saveexec_b64 s[72:73], s[62:63]
	s_cbranch_execz .LBB2_176
	s_branch .LBB2_180
.LBB2_179:                              ;   in Loop: Header=BB2_177 Depth=2
	s_trap 2
	ds_read_b64 v[4:5], v0
	s_andn2_b64 s[62:63], s[62:63], exec
	s_mov_b32 s21, 0
	s_waitcnt lgkmcnt(0)
	flat_load_dword v3, v[4:5] sc0 sc1
	s_waitcnt vmcnt(0) lgkmcnt(0)
	buffer_inv sc0 sc1
	v_cmp_eq_u32_e32 vcc, 0, v3
	s_and_b64 s[72:73], vcc, exec
	s_or_b64 s[62:63], s[62:63], s[72:73]
	s_mov_b64 s[74:75], -1
	s_or_b64 s[60:61], s[60:61], exec
	s_and_saveexec_b64 s[72:73], s[62:63]
	s_cbranch_execz .LBB2_176
.LBB2_180:                              ;   in Loop: Header=BB2_177 Depth=2
	s_sleep 1
	s_trap 2
	ds_read_b64 v[4:5], v0
	s_waitcnt lgkmcnt(0)
	s_andn2_b64 s[60:61], s[60:61], exec
	v_cmp_ge_u64_e32 vcc, v[4:5], v[54:55]
	s_orn2_b64 s[74:75], vcc, exec
	s_branch .LBB2_176
.LBB2_181:                              ;   in Loop: Header=BB2_24 Depth=1
	s_or_b64 exec, exec, s[56:57]
	s_and_saveexec_b64 s[56:57], s[58:59]
	s_xor_b64 s[56:57], exec, s[56:57]
	s_cbranch_execz .LBB2_183
; %bb.182:                              ;   in Loop: Header=BB2_24 Depth=1
	ds_write_b32 v0, v59
	s_trap 2
.LBB2_183:                              ;   in Loop: Header=BB2_24 Depth=1
	s_or_b64 exec, exec, s[46:47]
	;;#ASMSTART
	s_wakeup
	;;#ASMEND
.LBB2_184:                              ;   in Loop: Header=BB2_24 Depth=1
	s_or_b64 exec, exec, s[18:19]
.LBB2_185:                              ;   in Loop: Header=BB2_24 Depth=1
	s_andn2_saveexec_b64 s[16:17], s[16:17]
	s_cbranch_execz .LBB2_187
; %bb.186:                              ;   in Loop: Header=BB2_24 Depth=1
	buffer_wbl2 sc1
	s_waitcnt vmcnt(0) lgkmcnt(0)
	buffer_inv sc1
	s_barrier
.LBB2_187:                              ;   in Loop: Header=BB2_24 Depth=1
	s_or_b64 exec, exec, s[16:17]
	s_or_b64 exec, exec, s[14:15]
	s_and_saveexec_b64 s[14:15], s[10:11]
	s_cbranch_execz .LBB2_23
.LBB2_188:                              ;   in Loop: Header=BB2_24 Depth=1
	v_lshl_add_u64 v[48:49], v[48:49], 0, 1
	flat_store_dwordx2 v[50:51], v[48:49] sc0 sc1
	s_branch .LBB2_23
.LBB2_189:
	s_or_b64 exec, exec, s[28:29]
	s_or_b64 exec, exec, s[24:25]
	s_and_saveexec_b64 s[2:3], s[22:23]
	s_cbranch_execz .LBB2_20
.LBB2_190:
	s_waitcnt vmcnt(0) lgkmcnt(0)
	flat_store_dwordx2 v[32:33], v[48:49] offset:104
	s_or_b64 exec, exec, s[2:3]
	s_and_saveexec_b64 s[2:3], s[0:1]
	s_cbranch_execz .LBB2_21
.LBB2_191:
	s_waitcnt vmcnt(0) lgkmcnt(0)
	flat_store_dwordx2 v[28:29], v[14:15] offset:104
	s_or_b64 exec, exec, s[2:3]
	v_cmp_ne_u32_e32 vcc, 64, v22
	s_and_saveexec_b64 s[0:1], vcc
	s_cbranch_execz .LBB2_209
.LBB2_192:
	v_cmp_ne_u32_sdwa s[2:3], v22, v30 src0_sel:DWORD src1_sel:WORD_0
	s_and_saveexec_b64 s[4:5], s[2:3]
	s_xor_b64 s[2:3], exec, s[4:5]
	s_cbranch_execz .LBB2_207
; %bb.193:
	v_and_b32_e32 v0, 63, v31
	v_cmp_eq_u32_e32 vcc, 0, v0
	s_and_saveexec_b64 s[4:5], vcc
	s_cbranch_execz .LBB2_206
; %bb.194:
	s_mov_b64 s[8:9], exec
	v_mbcnt_lo_u32_b32 v0, s8, 0
	v_mbcnt_hi_u32_b32 v0, s9, v0
	v_cmp_eq_u32_e32 vcc, 0, v0
	buffer_wbl2 sc1
	s_waitcnt vmcnt(0) lgkmcnt(0)
	buffer_inv sc1
	s_and_saveexec_b64 s[6:7], vcc
	s_cbranch_execz .LBB2_196
; %bb.195:
	s_bcnt1_i32_b64 s8, s[8:9]
	v_mov_b32_e32 v0, s8
	v_mov_b32_e32 v1, 0
	ds_add_u64 v0, v[0:1]
	s_trap 2
.LBB2_196:
	s_or_b64 exec, exec, s[6:7]
	s_trap 2
	ds_read_b64 v[2:3], v0
	s_waitcnt lgkmcnt(0)
	v_lshrrev_b32_e32 v0, 6, v22
	v_mov_b32_e32 v1, 0
	v_lshl_add_u64 v[0:1], v[54:55], 0, v[0:1]
	v_cmp_lt_u64_e32 vcc, v[2:3], v[0:1]
	s_and_saveexec_b64 s[6:7], vcc
	s_cbranch_execz .LBB2_205
; %bb.197:
	s_mov_b32 s20, 0
	s_mov_b64 s[8:9], 0
                                        ; implicit-def: $sgpr10_sgpr11
                                        ; implicit-def: $sgpr12_sgpr13
	s_branch .LBB2_199
.LBB2_198:                              ;   in Loop: Header=BB2_199 Depth=1
	s_or_b64 exec, exec, s[16:17]
	s_and_b64 s[14:15], exec, s[18:19]
	s_or_b64 s[8:9], s[14:15], s[8:9]
	s_andn2_b64 s[10:11], s[10:11], exec
	s_and_b64 s[14:15], s[12:13], exec
	s_or_b64 s[10:11], s[10:11], s[14:15]
	s_andn2_b64 exec, exec, s[8:9]
	s_cbranch_execz .LBB2_203
.LBB2_199:                              ; =>This Inner Loop Header: Depth=1
	s_add_i32 s20, s20, 1
	s_cmpk_lg_i32 s20, 0x2710
	s_cselect_b64 s[14:15], -1, 0
	s_and_b64 vcc, exec, s[14:15]
	s_cbranch_vccz .LBB2_201
; %bb.200:                              ;   in Loop: Header=BB2_199 Depth=1
	s_mov_b64 s[18:19], -1
	s_or_b64 s[12:13], s[12:13], exec
	s_and_saveexec_b64 s[16:17], s[14:15]
	s_cbranch_execz .LBB2_198
	s_branch .LBB2_202
.LBB2_201:                              ;   in Loop: Header=BB2_199 Depth=1
	s_trap 2
	ds_read_b64 v[2:3], v0
	s_andn2_b64 s[14:15], s[14:15], exec
	s_mov_b32 s20, 0
	s_waitcnt lgkmcnt(0)
	flat_load_dword v2, v[2:3] sc0 sc1
	s_waitcnt vmcnt(0) lgkmcnt(0)
	buffer_inv sc0 sc1
	v_cmp_eq_u32_e32 vcc, 0, v2
	s_and_b64 s[16:17], vcc, exec
	s_or_b64 s[14:15], s[14:15], s[16:17]
	s_mov_b64 s[18:19], -1
	s_or_b64 s[12:13], s[12:13], exec
	s_and_saveexec_b64 s[16:17], s[14:15]
	s_cbranch_execz .LBB2_198
.LBB2_202:                              ;   in Loop: Header=BB2_199 Depth=1
	s_sleep 1
	s_trap 2
	ds_read_b64 v[2:3], v0
	s_waitcnt lgkmcnt(0)
	s_andn2_b64 s[12:13], s[12:13], exec
	v_cmp_ge_u64_e32 vcc, v[2:3], v[0:1]
	s_orn2_b64 s[18:19], vcc, exec
	s_branch .LBB2_198
.LBB2_203:
	s_or_b64 exec, exec, s[8:9]
	s_and_saveexec_b64 s[8:9], s[10:11]
	s_xor_b64 s[8:9], exec, s[8:9]
	s_cbranch_execz .LBB2_205
; %bb.204:
	v_mov_b32_e32 v0, 1
	ds_write_b32 v0, v0
	s_trap 2
.LBB2_205:
	s_or_b64 exec, exec, s[6:7]
	;;#ASMSTART
	s_wakeup
	;;#ASMEND
.LBB2_206:
	s_or_b64 exec, exec, s[4:5]
.LBB2_207:
	s_andn2_saveexec_b64 s[2:3], s[2:3]
	s_cbranch_execz .LBB2_209
; %bb.208:
	buffer_wbl2 sc1
	s_waitcnt vmcnt(0) lgkmcnt(0)
	buffer_inv sc1
	s_barrier
.LBB2_209:
	s_or_b64 exec, exec, s[0:1]
	scratch_load_dword v75, off, s32        ; 4-byte Folded Reload
	scratch_load_dword v74, off, s32 offset:4 ; 4-byte Folded Reload
	scratch_load_dword v73, off, s32 offset:8 ; 4-byte Folded Reload
	;; [unrolled: 1-line block ×19, first 2 shown]
	s_waitcnt vmcnt(0) lgkmcnt(0)
	s_setpc_b64 s[30:31]
.Lfunc_end2:
	.size	_ZN12_GLOBAL__N_17runRingId8FuncProdIdE7ProtoLLLi0ELi2ELi0EEEviiP15ncclDevWorkColl, .Lfunc_end2-_ZN12_GLOBAL__N_17runRingId8FuncProdIdE7ProtoLLLi0ELi2ELi0EEEviiP15ncclDevWorkColl
                                        ; -- End function
	.set .L_ZN12_GLOBAL__N_17runRingId8FuncProdIdE7ProtoLLLi0ELi2ELi0EEEviiP15ncclDevWorkColl.num_vgpr, 120
	.set .L_ZN12_GLOBAL__N_17runRingId8FuncProdIdE7ProtoLLLi0ELi2ELi0EEEviiP15ncclDevWorkColl.num_agpr, 0
	.set .L_ZN12_GLOBAL__N_17runRingId8FuncProdIdE7ProtoLLLi0ELi2ELi0EEEviiP15ncclDevWorkColl.numbered_sgpr, 90
	.set .L_ZN12_GLOBAL__N_17runRingId8FuncProdIdE7ProtoLLLi0ELi2ELi0EEEviiP15ncclDevWorkColl.num_named_barrier, 0
	.set .L_ZN12_GLOBAL__N_17runRingId8FuncProdIdE7ProtoLLLi0ELi2ELi0EEEviiP15ncclDevWorkColl.private_seg_size, 84
	.set .L_ZN12_GLOBAL__N_17runRingId8FuncProdIdE7ProtoLLLi0ELi2ELi0EEEviiP15ncclDevWorkColl.uses_vcc, 1
	.set .L_ZN12_GLOBAL__N_17runRingId8FuncProdIdE7ProtoLLLi0ELi2ELi0EEEviiP15ncclDevWorkColl.uses_flat_scratch, 0
	.set .L_ZN12_GLOBAL__N_17runRingId8FuncProdIdE7ProtoLLLi0ELi2ELi0EEEviiP15ncclDevWorkColl.has_dyn_sized_stack, 0
	.set .L_ZN12_GLOBAL__N_17runRingId8FuncProdIdE7ProtoLLLi0ELi2ELi0EEEviiP15ncclDevWorkColl.has_recursion, 0
	.set .L_ZN12_GLOBAL__N_17runRingId8FuncProdIdE7ProtoLLLi0ELi2ELi0EEEviiP15ncclDevWorkColl.has_indirect_call, 0
	.section	.AMDGPU.csdata,"",@progbits
; Function info:
; codeLenInByte = 6564
; TotalNumSgprs: 96
; NumVgprs: 120
; NumAgprs: 0
; TotalNumVgprs: 120
; ScratchSize: 84
; MemoryBound: 0
	.text
	.p2align	2                               ; -- Begin function _Z48ncclDevFunc_ReduceScatter_RING_LL_Prod_f64_0_0_2v
	.type	_Z48ncclDevFunc_ReduceScatter_RING_LL_Prod_f64_0_0_2v,@function
_Z48ncclDevFunc_ReduceScatter_RING_LL_Prod_f64_0_0_2v: ; @_Z48ncclDevFunc_ReduceScatter_RING_LL_Prod_f64_0_0_2v
; %bb.0:
	s_waitcnt vmcnt(0) expcnt(0) lgkmcnt(0)
	s_mov_b32 s0, s33
	s_mov_b32 s33, s32
	s_or_saveexec_b64 s[2:3], -1
	scratch_store_dword off, v42, s33 offset:8 ; 4-byte Folded Spill
	s_mov_b64 exec, s[2:3]
	v_writelane_b32 v42, s0, 2
	s_add_i32 s32, s32, 16
	scratch_store_dword off, v40, s33 offset:4 ; 4-byte Folded Spill
	scratch_store_dword off, v41, s33       ; 4-byte Folded Spill
	v_writelane_b32 v42, s30, 0
	s_nop 1
	v_writelane_b32 v42, s31, 1
	s_trap 2
	ds_read_b32 v0, v0
	s_waitcnt lgkmcnt(0)
	v_cmp_gt_i32_e32 vcc, 1, v0
	s_cbranch_vccnz .LBB3_8
; %bb.1:
	s_mov_b32 s92, s12
	s_mov_b64 s[90:91], s[8:9]
	s_mov_b32 s93, 0
	v_and_b32_e32 v40, 0x3ff, v31
	v_mov_b32_e32 v41, 6
	s_branch .LBB3_3
.LBB3_2:                                ;   in Loop: Header=BB3_3 Depth=1
	s_or_b64 exec, exec, s[94:95]
	s_trap 2
	ds_read_b32 v0, v0
	s_add_i32 s93, s93, 1
	s_waitcnt lgkmcnt(0)
	v_cmp_lt_i32_e32 vcc, s93, v0
	s_cbranch_vccz .LBB3_8
.LBB3_3:                                ; =>This Inner Loop Header: Depth=1
	s_trap 2
	ds_read_b32 v0, v0
	s_cmp_eq_u32 s93, 0
	s_cbranch_scc1 .LBB3_6
; %bb.4:                                ;   in Loop: Header=BB3_3 Depth=1
	s_trap 2
	s_waitcnt lgkmcnt(0)
	ds_read_b32 v1, v0
	s_waitcnt lgkmcnt(0)
	v_xor_b32_e32 v1, v1, v0
	v_and_b32_e32 v1, 0xff0000, v1
	v_cmp_eq_u32_e32 vcc, 0, v1
	s_cbranch_vccnz .LBB3_6
; %bb.5:                                ;   in Loop: Header=BB3_3 Depth=1
	s_barrier
	ds_read_b32 v0, v0
.LBB3_6:                                ;   in Loop: Header=BB3_3 Depth=1
	s_waitcnt lgkmcnt(0)
	v_lshlrev_b32_sdwa v1, v41, v0 dst_sel:DWORD dst_unused:UNUSED_PAD src0_sel:DWORD src1_sel:BYTE_2
	v_cmp_lt_u32_e32 vcc, v40, v1
	s_and_saveexec_b64 s[94:95], vcc
	s_cbranch_execz .LBB3_2
; %bb.7:                                ;   in Loop: Header=BB3_3 Depth=1
	s_mov_b64 s[0:1], src_shared_base
	s_getpc_b64 s[2:3]
	s_add_u32 s2, s2, _ZN12_GLOBAL__N_17runRingId8FuncProdIdE7ProtoLLLi0ELi2ELi0EEEviiP15ncclDevWorkColl@rel32@lo+4
	s_addc_u32 s3, s3, _ZN12_GLOBAL__N_17runRingId8FuncProdIdE7ProtoLLLi0ELi2ELi0EEEviiP15ncclDevWorkColl@rel32@hi+12
	s_mov_b64 s[8:9], s[90:91]
	s_mov_b32 s12, s92
	v_mov_b32_e32 v0, v40
	v_mov_b32_e32 v3, s1
	s_swappc_b64 s[30:31], s[2:3]
	s_branch .LBB3_2
.LBB3_8:
	scratch_load_dword v41, off, s33        ; 4-byte Folded Reload
	scratch_load_dword v40, off, s33 offset:4 ; 4-byte Folded Reload
	v_readlane_b32 s30, v42, 0
	v_readlane_b32 s31, v42, 1
	s_mov_b32 s32, s33
	v_readlane_b32 s0, v42, 2
	s_or_saveexec_b64 s[2:3], -1
	scratch_load_dword v42, off, s33 offset:8 ; 4-byte Folded Reload
	s_mov_b64 exec, s[2:3]
	s_mov_b32 s33, s0
	s_waitcnt vmcnt(0)
	s_setpc_b64 s[30:31]
.Lfunc_end3:
	.size	_Z48ncclDevFunc_ReduceScatter_RING_LL_Prod_f64_0_0_2v, .Lfunc_end3-_Z48ncclDevFunc_ReduceScatter_RING_LL_Prod_f64_0_0_2v
                                        ; -- End function
	.set .L_Z48ncclDevFunc_ReduceScatter_RING_LL_Prod_f64_0_0_2v.num_vgpr, max(43, .L_ZN12_GLOBAL__N_17runRingId8FuncProdIdE7ProtoLLLi0ELi2ELi0EEEviiP15ncclDevWorkColl.num_vgpr)
	.set .L_Z48ncclDevFunc_ReduceScatter_RING_LL_Prod_f64_0_0_2v.num_agpr, max(0, .L_ZN12_GLOBAL__N_17runRingId8FuncProdIdE7ProtoLLLi0ELi2ELi0EEEviiP15ncclDevWorkColl.num_agpr)
	.set .L_Z48ncclDevFunc_ReduceScatter_RING_LL_Prod_f64_0_0_2v.numbered_sgpr, max(96, .L_ZN12_GLOBAL__N_17runRingId8FuncProdIdE7ProtoLLLi0ELi2ELi0EEEviiP15ncclDevWorkColl.numbered_sgpr)
	.set .L_Z48ncclDevFunc_ReduceScatter_RING_LL_Prod_f64_0_0_2v.num_named_barrier, max(0, .L_ZN12_GLOBAL__N_17runRingId8FuncProdIdE7ProtoLLLi0ELi2ELi0EEEviiP15ncclDevWorkColl.num_named_barrier)
	.set .L_Z48ncclDevFunc_ReduceScatter_RING_LL_Prod_f64_0_0_2v.private_seg_size, 16+max(.L_ZN12_GLOBAL__N_17runRingId8FuncProdIdE7ProtoLLLi0ELi2ELi0EEEviiP15ncclDevWorkColl.private_seg_size)
	.set .L_Z48ncclDevFunc_ReduceScatter_RING_LL_Prod_f64_0_0_2v.uses_vcc, or(1, .L_ZN12_GLOBAL__N_17runRingId8FuncProdIdE7ProtoLLLi0ELi2ELi0EEEviiP15ncclDevWorkColl.uses_vcc)
	.set .L_Z48ncclDevFunc_ReduceScatter_RING_LL_Prod_f64_0_0_2v.uses_flat_scratch, or(0, .L_ZN12_GLOBAL__N_17runRingId8FuncProdIdE7ProtoLLLi0ELi2ELi0EEEviiP15ncclDevWorkColl.uses_flat_scratch)
	.set .L_Z48ncclDevFunc_ReduceScatter_RING_LL_Prod_f64_0_0_2v.has_dyn_sized_stack, or(0, .L_ZN12_GLOBAL__N_17runRingId8FuncProdIdE7ProtoLLLi0ELi2ELi0EEEviiP15ncclDevWorkColl.has_dyn_sized_stack)
	.set .L_Z48ncclDevFunc_ReduceScatter_RING_LL_Prod_f64_0_0_2v.has_recursion, or(1, .L_ZN12_GLOBAL__N_17runRingId8FuncProdIdE7ProtoLLLi0ELi2ELi0EEEviiP15ncclDevWorkColl.has_recursion)
	.set .L_Z48ncclDevFunc_ReduceScatter_RING_LL_Prod_f64_0_0_2v.has_indirect_call, or(0, .L_ZN12_GLOBAL__N_17runRingId8FuncProdIdE7ProtoLLLi0ELi2ELi0EEEviiP15ncclDevWorkColl.has_indirect_call)
	.section	.AMDGPU.csdata,"",@progbits
; Function info:
; codeLenInByte = 376
; TotalNumSgprs: 102
; NumVgprs: 120
; NumAgprs: 0
; TotalNumVgprs: 120
; ScratchSize: 100
; MemoryBound: 0
	.text
	.p2align	2                               ; -- Begin function _ZN12_GLOBAL__N_17runRingId8FuncProdIdE7ProtoLLLi0ELi4ELi0EEEviiP15ncclDevWorkColl
	.type	_ZN12_GLOBAL__N_17runRingId8FuncProdIdE7ProtoLLLi0ELi4ELi0EEEviiP15ncclDevWorkColl,@function
_ZN12_GLOBAL__N_17runRingId8FuncProdIdE7ProtoLLLi0ELi4ELi0EEEviiP15ncclDevWorkColl: ; @_ZN12_GLOBAL__N_17runRingId8FuncProdIdE7ProtoLLLi0ELi4ELi0EEEviiP15ncclDevWorkColl
; %bb.0:
	s_waitcnt vmcnt(0) expcnt(0) lgkmcnt(0)
	scratch_store_dword off, v40, s32 offset:76 ; 4-byte Folded Spill
	scratch_store_dword off, v41, s32 offset:72 ; 4-byte Folded Spill
	;; [unrolled: 1-line block ×19, first 2 shown]
	scratch_store_dword off, v75, s32       ; 4-byte Folded Spill
	s_trap 2
	flat_load_dword v9, v[2:3]
	flat_load_dwordx4 v[4:7], v[2:3] offset:72
	flat_load_dwordx2 v[16:17], v[2:3] offset:88
	s_movk_i32 s0, 0xff
	v_mov_b32_e32 v22, v1
	ds_read_b32 v1, v0
	ds_read_b64 v[24:25], v0
                                        ; implicit-def: $vgpr86_vgpr87
                                        ; implicit-def: $vgpr26_vgpr27
	s_waitcnt lgkmcnt(0)
	v_readfirstlane_b32 s20, v1
	s_waitcnt vmcnt(0)
	v_bitop3_b32 v8, v9, s0, v9 bitop3:0x3f
	v_add_u32_sdwa v10, v9, v8 dst_sel:DWORD dst_unused:UNUSED_PAD src0_sel:BYTE_1 src1_sel:DWORD
	v_ashrrev_i32_e32 v11, 31, v10
	v_mul_lo_u32 v12, v7, v10
	v_mad_u64_u32 v[18:19], s[0:1], v6, v10, 0
	v_mul_lo_u32 v10, v6, v11
	v_add3_u32 v19, v19, v10, v12
	v_cmp_ne_u32_sdwa s[0:1], v1, v9 src0_sel:DWORD src1_sel:BYTE_0
	s_and_saveexec_b64 s[2:3], s[0:1]
	s_xor_b64 s[0:1], exec, s[2:3]
	s_cbranch_execz .LBB4_6
; %bb.1:
	v_cmp_ne_u32_sdwa s[2:3], v1, v9 src0_sel:DWORD src1_sel:BYTE_1
                                        ; implicit-def: $vgpr86_vgpr87
                                        ; implicit-def: $vgpr26_vgpr27
	s_and_saveexec_b64 s[4:5], s[2:3]
	s_xor_b64 s[2:3], exec, s[4:5]
	s_cbranch_execz .LBB4_3
; %bb.2:
	flat_load_dwordx2 v[10:11], v[2:3] offset:96
	v_add_u32_e32 v1, v1, v8
	v_ashrrev_i32_e32 v8, 31, v1
	v_mul_lo_u32 v8, v6, v8
	v_mul_lo_u32 v9, v7, v1
	v_mad_u64_u32 v[26:27], s[4:5], v6, v1, v[4:5]
	v_add3_u32 v27, v9, v27, v8
	s_waitcnt vmcnt(0) lgkmcnt(0)
	v_lshrrev_b64 v[86:87], 20, v[10:11]
.LBB4_3:
	s_andn2_saveexec_b64 s[2:3], s[2:3]
	s_cbranch_execz .LBB4_5
; %bb.4:
	flat_load_dword v1, v[2:3] offset:100
	v_lshl_add_u64 v[26:27], v[18:19], 0, v[4:5]
	v_mov_b64_e32 v[6:7], v[16:17]
	s_waitcnt vmcnt(0) lgkmcnt(0)
	v_lshrrev_b32_e32 v86, 9, v1
.LBB4_5:
	s_or_b64 exec, exec, s[2:3]
.LBB4_6:
	s_andn2_saveexec_b64 s[0:1], s[0:1]
	s_cbranch_execz .LBB4_8
; %bb.7:
	flat_load_dwordx2 v[6:7], v[2:3] offset:96
	v_mov_b64_e32 v[26:27], 0
	s_waitcnt vmcnt(0) lgkmcnt(0)
	v_lshlrev_b64 v[86:87], 1, v[6:7]
	v_mov_b64_e32 v[6:7], v[4:5]
.LBB4_8:
	s_or_b64 exec, exec, s[0:1]
	flat_load_ushort v13, v[2:3] offset:8
	flat_load_dword v12, v[2:3] offset:4
	s_load_dword s0, s[8:9], 0x0
	v_mov_b32_e32 v69, 0
	flat_load_dwordx4 v[8:11], v[2:3] offset:16
	v_ashrrev_i32_e32 v1, 31, v0
	v_lshrrev_b32_e32 v2, 26, v1
	s_waitcnt lgkmcnt(0)
	s_cmp_lt_u32 s12, s0
	s_cselect_b32 s0, 12, 18
	s_add_u32 s0, s8, s0
	s_addc_u32 s1, s9, 0
	global_load_ushort v30, v69, s[0:1]
	s_trap 2
	ds_read_b32 v68, v0
	v_add_u32_e32 v14, v0, v2
	s_mov_b32 s2, 0
	v_mov_b64_e32 v[28:29], 0
	s_waitcnt lgkmcnt(0)
	v_cmp_gt_i32_e32 vcc, 0, v68
	s_and_b64 vcc, exec, vcc
	s_waitcnt vmcnt(0)
	v_lshrrev_b64 v[2:3], 31, v[12:13]
	v_and_b32_e32 v15, 3, v2
	v_and_b32_e32 v2, 0xffffffc0, v14
	v_sub_u32_e32 v14, v0, v2
	v_cmp_eq_u32_e64 s[0:1], 0, v14
	s_cbranch_vccnz .LBB4_10
; %bb.9:
	s_trap 2
	ds_read_b64 v[2:3], v0
	v_lshlrev_b64 v[12:13], 3, v[68:69]
	s_movk_i32 s2, 0xa8
	s_waitcnt lgkmcnt(0)
	v_lshl_add_u64 v[2:3], v[2:3], 0, v[12:13]
	flat_load_dwordx2 v[2:3], v[2:3]
	v_and_b32_e32 v12, 0xffff, v15
	s_waitcnt vmcnt(0) lgkmcnt(0)
	v_mad_u64_u32 v[2:3], s[2:3], v12, s2, v[2:3]
	flat_load_dwordx2 v[34:35], v[2:3] offset:504
	flat_load_dwordx2 v[36:37], v[2:3] offset:608
	s_mov_b64 s[2:3], 0x1f8
	v_lshl_add_u64 v[32:33], v[2:3], 0, s[2:3]
	v_cndmask_b32_e64 v3, 0, v33, s[0:1]
	v_cndmask_b32_e64 v2, 0, v32, s[0:1]
	s_mov_b32 s2, 1
	s_branch .LBB4_11
.LBB4_10:
	v_mov_b64_e32 v[32:33], 0
                                        ; implicit-def: $vgpr36_vgpr37
                                        ; implicit-def: $vgpr34_vgpr35
	v_mov_b64_e32 v[2:3], 0
.LBB4_11:
	s_trap 2
	ds_read_b32 v12, v0
	s_waitcnt lgkmcnt(0)
	v_cmp_gt_i32_e32 vcc, 0, v12
	s_cbranch_vccnz .LBB4_13
; %bb.12:
	s_trap 2
	ds_read_b64 v[20:21], v0
	v_mov_b32_e32 v13, 0
	v_lshlrev_b64 v[12:13], 3, v[12:13]
	v_and_b32_e32 v15, 0xffff, v15
	s_movk_i32 s0, 0xa8
	s_waitcnt lgkmcnt(0)
	v_lshl_add_u64 v[12:13], v[20:21], 0, v[12:13]
	flat_load_dwordx2 v[12:13], v[12:13]
	v_cmp_eq_u32_e32 vcc, 0, v14
	s_waitcnt vmcnt(0) lgkmcnt(0)
	v_mad_u64_u32 v[28:29], s[0:1], v15, s0, v[12:13]
	flat_load_dwordx2 v[38:39], v[28:29]
	flat_load_dwordx2 v[20:21], v[28:29] offset:104
	v_cndmask_b32_e32 v55, 0, v29, vcc
	v_cndmask_b32_e32 v54, 0, v28, vcc
	s_branch .LBB4_14
.LBB4_13:
                                        ; implicit-def: $vgpr20_vgpr21
                                        ; implicit-def: $vgpr38_vgpr39
	v_mov_b64_e32 v[54:55], 0
.LBB4_14:
	v_subrev_u32_e32 v12, 64, v22
	v_cmp_ge_i32_e32 vcc, v0, v12
	v_cmp_gt_i32_e64 s[0:1], s2, v14
	s_and_b64 s[22:23], vcc, s[0:1]
	v_mov_b64_e32 v[12:13], 0
	v_mov_b64_e32 v[50:51], 0
                                        ; implicit-def: $vgpr48_vgpr49
	s_and_saveexec_b64 s[0:1], s[22:23]
	s_cbranch_execz .LBB4_16
; %bb.15:
	flat_load_dwordx2 v[50:51], v[2:3] offset:56
	flat_load_dwordx2 v[48:49], v[2:3] offset:104
.LBB4_16:
	s_or_b64 exec, exec, s[0:1]
	v_cmp_gt_i32_e64 s[0:1], s2, v0
	v_mov_b64_e32 v[52:53], 0
                                        ; implicit-def: $vgpr64_vgpr65
	s_and_saveexec_b64 s[2:3], s[0:1]
	s_cbranch_execz .LBB4_18
; %bb.17:
	flat_load_dwordx2 v[52:53], v[54:55] offset:56
	s_waitcnt vmcnt(0) lgkmcnt(0)
	flat_load_dwordx2 v[64:65], v[52:53] sc0 sc1
	s_waitcnt vmcnt(0)
	flat_load_dwordx4 v[12:15], v[54:55] offset:96
.LBB4_18:
	s_or_b64 exec, exec, s[2:3]
	v_mov_b64_e32 v[54:55], 0
	v_cmp_ne_u64_e32 vcc, 0, v[6:7]
	s_and_saveexec_b64 s[24:25], vcc
	s_cbranch_execnz .LBB4_22
; %bb.19:
	s_or_b64 exec, exec, s[24:25]
	s_and_saveexec_b64 s[2:3], s[22:23]
	s_cbranch_execnz .LBB4_190
.LBB4_20:
	s_or_b64 exec, exec, s[2:3]
	s_and_saveexec_b64 s[2:3], s[0:1]
	s_cbranch_execnz .LBB4_191
.LBB4_21:
	s_or_b64 exec, exec, s[2:3]
	v_cmp_ne_u32_e32 vcc, 64, v22
	s_and_saveexec_b64 s[0:1], vcc
	s_cbranch_execnz .LBB4_192
	s_branch .LBB4_209
.LBB4_22:
	v_ashrrev_i32_e32 v3, 31, v68
	s_ashr_i32 s21, s20, 31
	v_lshrrev_b32_e32 v3, 29, v3
	v_lshl_add_u64 v[4:5], v[16:17], 0, v[4:5]
	s_lshl_b64 s[2:3], s[20:21], 2
	v_add_u32_e32 v3, v68, v3
	v_lshl_add_u64 v[68:69], v[4:5], 0, v[18:19]
	v_lshl_add_u64 v[4:5], v[24:25], 0, s[2:3]
	v_mov_b32_e32 v2, 0
	v_ashrrev_i32_e32 v58, 7, v3
	v_lshl_add_u64 v[70:71], v[4:5], 0, -4
	v_and_b32_e32 v3, 63, v31
	v_lshlrev_b64 v[4:5], 3, v[0:1]
	v_cmp_eq_u32_e64 s[8:9], 0, v3
	v_mov_b32_e32 v23, v2
	s_cmp_gt_i32 s20, 2
	v_lshl_add_u64 v[82:83], v[10:11], 0, v[4:5]
	v_lshl_add_u64 v[84:85], v[8:9], 0, v[4:5]
	v_and_b32_e32 v8, 7, v8
	v_mov_b32_e32 v9, v2
	v_lshl_add_u64 v[4:5], v[26:27], 3, v[4:5]
	v_lshlrev_b32_e32 v3, 3, v86
	v_and_b32_e32 v66, 0x3ffffe, v86
	s_mov_b32 s27, 0
	v_mov_b32_e32 v67, v2
	s_mov_b64 s[28:29], 0
	v_cmp_ne_u64_e64 s[2:3], 0, v[52:53]
	s_waitcnt vmcnt(0) lgkmcnt(0)
	v_cmp_ne_u64_e64 s[4:5], 0, v[12:13]
	v_cmp_ne_u32_e64 s[6:7], 64, v22
	v_cmp_ne_u32_sdwa s[40:41], v22, v30 src0_sel:DWORD src1_sel:WORD_0
	v_lshrrev_b32_e32 v80, 6, v22
	v_mov_b32_e32 v81, v2
	s_cselect_b64 s[42:43], -1, 0
	v_cmp_ne_u64_e64 s[10:11], 0, v[50:51]
	v_cmp_eq_u64_e64 s[12:13], 0, v[8:9]
	v_lshl_add_u64 v[8:9], v[10:11], 0, v[4:5]
	v_and_b32_e32 v86, 0x1fffff0, v3
	v_mov_b32_e32 v87, v2
	v_lshlrev_b64 v[96:97], 3, v[68:69]
	v_lshlrev_b64 v[98:99], 3, v[22:23]
	v_lshl_add_u64 v[100:101], v[0:1], 4, v[38:39]
	v_lshlrev_b64 v[102:103], 4, v[22:23]
	v_mov_b64_e32 v[112:113], 0
	s_mov_b64 s[44:45], 0x7ffffff8
	v_mov_b32_e32 v59, 1
	v_mov_b32_e32 v60, 0
	v_mov_b64_e32 v[54:55], 0
	s_branch .LBB4_24
.LBB4_23:                               ;   in Loop: Header=BB4_24 Depth=1
	s_or_b64 exec, exec, s[14:15]
	v_lshl_add_u64 v[112:113], v[112:113], 0, v[66:67]
	v_cmp_ge_u64_e32 vcc, v[112:113], v[6:7]
	v_lshl_add_u64 v[36:37], v[36:37], 0, 1
	s_or_b64 s[28:29], vcc, s[28:29]
	v_lshl_add_u64 v[8:9], v[8:9], 0, v[86:87]
	s_andn2_b64 exec, exec, s[28:29]
	s_cbranch_execz .LBB4_189
.LBB4_24:                               ; =>This Loop Header: Depth=1
                                        ;     Child Loop BB4_29 Depth 2
                                        ;     Child Loop BB4_48 Depth 2
	;; [unrolled: 1-line block ×5, first 2 shown]
                                        ;       Child Loop BB4_74 Depth 3
                                        ;       Child Loop BB4_93 Depth 3
	;; [unrolled: 1-line block ×3, first 2 shown]
                                        ;         Child Loop BB4_120 Depth 4
                                        ;       Child Loop BB4_135 Depth 3
                                        ;       Child Loop BB4_110 Depth 3
                                        ;     Child Loop BB4_151 Depth 2
                                        ;       Child Loop BB4_156 Depth 3
                                        ;     Child Loop BB4_177 Depth 2
	s_waitcnt vmcnt(0) lgkmcnt(0)
	flat_load_dword v3, v[70:71]
	v_sub_co_u32_e32 v4, vcc, v6, v112
	s_nop 1
	v_subb_co_u32_e32 v5, vcc, v7, v113, vcc
	v_cmp_lt_u64_e32 vcc, v[66:67], v[4:5]
	s_nop 1
	v_cndmask_b32_e32 v61, v4, v66, vcc
	s_and_saveexec_b64 s[16:17], s[2:3]
	s_cbranch_execz .LBB4_40
; %bb.25:                               ;   in Loop: Header=BB4_24 Depth=1
	v_lshl_add_u64 v[4:5], v[14:15], 0, 1
	v_lshl_add_u64 v[16:17], v[64:65], 0, 8
	v_cmp_lt_u64_e32 vcc, v[16:17], v[4:5]
	s_and_saveexec_b64 s[18:19], vcc
	s_cbranch_execz .LBB4_37
; %bb.26:                               ;   in Loop: Header=BB4_24 Depth=1
	s_mov_b32 s21, 0
	v_cmp_eq_u32_e32 vcc, 0, v60
	s_mov_b64 s[46:47], 0
                                        ; implicit-def: $sgpr56_sgpr57
                                        ; implicit-def: $sgpr58_sgpr59
                                        ; implicit-def: $sgpr60_sgpr61
	s_branch .LBB4_29
.LBB4_27:                               ;   in Loop: Header=BB4_29 Depth=2
	s_or_b64 exec, exec, s[78:79]
	s_andn2_b64 s[14:15], s[60:61], exec
	s_and_b64 s[60:61], s[74:75], exec
	s_or_b64 s[60:61], s[14:15], s[60:61]
	s_andn2_b64 s[14:15], s[58:59], exec
	s_and_b64 s[58:59], s[72:73], exec
	v_mov_b32_e32 v16, 0
	s_or_b64 s[58:59], s[14:15], s[58:59]
.LBB4_28:                               ;   in Loop: Header=BB4_29 Depth=2
	s_or_b64 exec, exec, s[62:63]
	s_and_b64 s[14:15], exec, s[58:59]
	s_or_b64 s[46:47], s[14:15], s[46:47]
	s_andn2_b64 s[14:15], s[56:57], exec
	s_and_b64 s[56:57], s[60:61], exec
	s_or_b64 s[56:57], s[14:15], s[56:57]
	s_andn2_b64 exec, exec, s[46:47]
	s_cbranch_execz .LBB4_34
.LBB4_29:                               ;   Parent Loop BB4_24 Depth=1
                                        ; =>  This Inner Loop Header: Depth=2
	s_sleep 1
	s_waitcnt vmcnt(0) lgkmcnt(0)
	flat_load_dwordx2 v[64:65], v[52:53] sc1
	s_or_b64 s[60:61], s[60:61], exec
	s_or_b64 s[58:59], s[58:59], exec
	v_mov_b32_e32 v16, v60
                                        ; implicit-def: $vgpr15
	s_and_saveexec_b64 s[62:63], vcc
	s_cbranch_execz .LBB4_28
; %bb.30:                               ;   in Loop: Header=BB4_29 Depth=2
	s_add_i32 s21, s21, 1
	s_cmpk_lg_i32 s21, 0x2710
	s_cselect_b64 s[76:77], -1, 0
	s_cmpk_eq_i32 s21, 0x2710
	s_mov_b64 s[72:73], -1
	s_mov_b64 s[74:75], -1
                                        ; implicit-def: $vgpr15
	s_cbranch_scc1 .LBB4_32
; %bb.31:                               ;   in Loop: Header=BB4_29 Depth=2
	s_and_saveexec_b64 s[78:79], s[76:77]
	s_cbranch_execz .LBB4_27
	s_branch .LBB4_33
.LBB4_32:                               ;   in Loop: Header=BB4_29 Depth=2
	s_trap 2
	ds_read_b64 v[16:17], v0
	s_andn2_b64 s[76:77], s[76:77], exec
	s_mov_b32 s21, 0
	s_mov_b64 s[74:75], 0
	s_waitcnt vmcnt(0) lgkmcnt(0)
	flat_load_dword v15, v[16:17] sc0 sc1
	s_waitcnt vmcnt(0) lgkmcnt(0)
	buffer_inv sc0 sc1
	v_cmp_eq_u32_e64 s[14:15], 0, v15
	s_and_b64 s[14:15], s[14:15], exec
	s_or_b64 s[76:77], s[76:77], s[14:15]
	s_and_saveexec_b64 s[78:79], s[76:77]
	s_cbranch_execz .LBB4_27
.LBB4_33:                               ;   in Loop: Header=BB4_29 Depth=2
	s_waitcnt vmcnt(0) lgkmcnt(0)
	v_lshl_add_u64 v[16:17], v[64:65], 0, 8
	v_cmp_ge_u64_e64 s[14:15], v[16:17], v[4:5]
	s_or_b64 s[74:75], s[74:75], exec
	s_orn2_b64 s[72:73], s[14:15], exec
	s_branch .LBB4_27
.LBB4_34:                               ;   in Loop: Header=BB4_24 Depth=1
	s_or_b64 exec, exec, s[46:47]
	s_xor_b64 s[14:15], s[56:57], -1
	s_and_saveexec_b64 s[46:47], s[14:15]
	s_xor_b64 s[14:15], exec, s[46:47]
	s_cbranch_execz .LBB4_36
; %bb.35:                               ;   in Loop: Header=BB4_24 Depth=1
	v_mov_b32_e32 v16, 1
	s_waitcnt lgkmcnt(0)
	ds_write_b32 v0, v15
	s_trap 2
.LBB4_36:                               ;   in Loop: Header=BB4_24 Depth=1
	s_or_b64 exec, exec, s[14:15]
	v_mov_b32_e32 v60, v16
.LBB4_37:                               ;   in Loop: Header=BB4_24 Depth=1
	s_or_b64 exec, exec, s[18:19]
	s_and_saveexec_b64 s[14:15], s[4:5]
	s_cbranch_execz .LBB4_39
; %bb.38:                               ;   in Loop: Header=BB4_24 Depth=1
	v_and_b32_e32 v16, 0x7ffffff8, v14
	v_mov_b32_e32 v17, v2
	v_cmp_eq_u64_e32 vcc, s[44:45], v[16:17]
	v_and_b32_e32 v14, 7, v14
	s_nop 0
	v_cndmask_b32_e32 v15, v61, v58, vcc
	v_lshlrev_b32_e32 v16, 4, v15
	v_ashrrev_i32_e32 v17, 31, v16
	v_mad_u64_u32 v[14:15], s[18:19], v14, 24, v[12:13]
	flat_store_dwordx2 v[14:15], v[16:17] offset:8 sc0 sc1
	s_waitcnt vmcnt(0)
.LBB4_39:                               ;   in Loop: Header=BB4_24 Depth=1
	s_or_b64 exec, exec, s[14:15]
	v_mov_b64_e32 v[14:15], v[4:5]
.LBB4_40:                               ;   in Loop: Header=BB4_24 Depth=1
	s_or_b64 exec, exec, s[16:17]
	s_and_saveexec_b64 s[14:15], s[6:7]
	s_cbranch_execz .LBB4_59
; %bb.41:                               ;   in Loop: Header=BB4_24 Depth=1
	s_and_saveexec_b64 s[16:17], s[40:41]
	s_xor_b64 s[16:17], exec, s[16:17]
	s_cbranch_execz .LBB4_56
; %bb.42:                               ;   in Loop: Header=BB4_24 Depth=1
	s_and_saveexec_b64 s[18:19], s[8:9]
	s_cbranch_execz .LBB4_55
; %bb.43:                               ;   in Loop: Header=BB4_24 Depth=1
	s_mov_b64 s[56:57], exec
	v_mbcnt_lo_u32_b32 v4, s56, 0
	v_mbcnt_hi_u32_b32 v4, s57, v4
	v_cmp_eq_u32_e32 vcc, 0, v4
	buffer_wbl2 sc1
	s_waitcnt vmcnt(0) lgkmcnt(0)
	buffer_inv sc1
	s_and_saveexec_b64 s[46:47], vcc
	s_cbranch_execz .LBB4_45
; %bb.44:                               ;   in Loop: Header=BB4_24 Depth=1
	s_bcnt1_i32_b64 s21, s[56:57]
	v_mov_b32_e32 v4, s21
	v_mov_b32_e32 v5, v2
	ds_add_u64 v0, v[4:5]
	s_trap 2
.LBB4_45:                               ;   in Loop: Header=BB4_24 Depth=1
	s_or_b64 exec, exec, s[46:47]
	s_trap 2
	ds_read_b64 v[4:5], v0
	s_waitcnt lgkmcnt(0)
	v_lshl_add_u64 v[54:55], v[54:55], 0, v[80:81]
	v_cmp_lt_u64_e32 vcc, v[4:5], v[54:55]
	s_and_saveexec_b64 s[46:47], vcc
	s_cbranch_execz .LBB4_54
; %bb.46:                               ;   in Loop: Header=BB4_24 Depth=1
	s_mov_b32 s21, 0
	s_mov_b64 s[56:57], 0
                                        ; implicit-def: $sgpr58_sgpr59
                                        ; implicit-def: $sgpr60_sgpr61
	s_branch .LBB4_48
.LBB4_47:                               ;   in Loop: Header=BB4_48 Depth=2
	s_or_b64 exec, exec, s[72:73]
	s_and_b64 s[62:63], exec, s[74:75]
	s_or_b64 s[56:57], s[62:63], s[56:57]
	s_andn2_b64 s[58:59], s[58:59], exec
	s_and_b64 s[62:63], s[60:61], exec
	s_or_b64 s[58:59], s[58:59], s[62:63]
	s_andn2_b64 exec, exec, s[56:57]
	s_cbranch_execz .LBB4_52
.LBB4_48:                               ;   Parent Loop BB4_24 Depth=1
                                        ; =>  This Inner Loop Header: Depth=2
	s_add_i32 s21, s21, 1
	s_cmpk_lg_i32 s21, 0x2710
	s_cselect_b64 s[62:63], -1, 0
	s_and_b64 vcc, exec, s[62:63]
	s_cbranch_vccz .LBB4_50
; %bb.49:                               ;   in Loop: Header=BB4_48 Depth=2
	s_mov_b64 s[74:75], -1
	s_or_b64 s[60:61], s[60:61], exec
	s_and_saveexec_b64 s[72:73], s[62:63]
	s_cbranch_execz .LBB4_47
	s_branch .LBB4_51
.LBB4_50:                               ;   in Loop: Header=BB4_48 Depth=2
	s_trap 2
	ds_read_b64 v[4:5], v0
	s_andn2_b64 s[62:63], s[62:63], exec
	s_mov_b32 s21, 0
	s_waitcnt lgkmcnt(0)
	flat_load_dword v4, v[4:5] sc0 sc1
	s_waitcnt vmcnt(0) lgkmcnt(0)
	buffer_inv sc0 sc1
	v_cmp_eq_u32_e32 vcc, 0, v4
	s_and_b64 s[72:73], vcc, exec
	s_or_b64 s[62:63], s[62:63], s[72:73]
	s_mov_b64 s[74:75], -1
	s_or_b64 s[60:61], s[60:61], exec
	s_and_saveexec_b64 s[72:73], s[62:63]
	s_cbranch_execz .LBB4_47
.LBB4_51:                               ;   in Loop: Header=BB4_48 Depth=2
	s_sleep 1
	s_trap 2
	ds_read_b64 v[4:5], v0
	s_waitcnt lgkmcnt(0)
	s_andn2_b64 s[60:61], s[60:61], exec
	v_cmp_ge_u64_e32 vcc, v[4:5], v[54:55]
	s_orn2_b64 s[74:75], vcc, exec
	s_branch .LBB4_47
.LBB4_52:                               ;   in Loop: Header=BB4_24 Depth=1
	s_or_b64 exec, exec, s[56:57]
	s_and_saveexec_b64 s[56:57], s[58:59]
	s_xor_b64 s[56:57], exec, s[56:57]
	s_cbranch_execz .LBB4_54
; %bb.53:                               ;   in Loop: Header=BB4_24 Depth=1
	ds_write_b32 v0, v59
	s_trap 2
.LBB4_54:                               ;   in Loop: Header=BB4_24 Depth=1
	s_or_b64 exec, exec, s[46:47]
	;;#ASMSTART
	s_wakeup
	;;#ASMEND
.LBB4_55:                               ;   in Loop: Header=BB4_24 Depth=1
	s_or_b64 exec, exec, s[18:19]
.LBB4_56:                               ;   in Loop: Header=BB4_24 Depth=1
	s_andn2_saveexec_b64 s[16:17], s[16:17]
	s_cbranch_execz .LBB4_58
; %bb.57:                               ;   in Loop: Header=BB4_24 Depth=1
	buffer_wbl2 sc1
	s_waitcnt vmcnt(0) lgkmcnt(0)
	buffer_inv sc1
	s_barrier
.LBB4_58:                               ;   in Loop: Header=BB4_24 Depth=1
	s_or_b64 exec, exec, s[16:17]
.LBB4_59:                               ;   in Loop: Header=BB4_24 Depth=1
	s_or_b64 exec, exec, s[14:15]
	v_sub_u32_e32 v62, v61, v0
	v_cmp_lt_i32_e64 s[14:15], 0, v62
	v_and_b32_e32 v115, 7, v20
	v_add_u32_e32 v17, 1, v20
	v_mov_b32_e32 v114, v0
	s_and_saveexec_b64 s[16:17], s[14:15]
	s_cbranch_execz .LBB4_63
; %bb.60:                               ;   in Loop: Header=BB4_24 Depth=1
	s_waitcnt vmcnt(0) lgkmcnt(0)
	v_ashrrev_i32_e32 v16, 31, v3
	v_mul_lo_u32 v18, v115, v58
	v_ashrrev_i32_e32 v19, 31, v18
	v_mad_u64_u32 v[4:5], s[18:19], v96, v3, v[8:9]
	v_mul_lo_u32 v3, v97, v3
	v_mul_lo_u32 v16, v96, v16
	v_add3_u32 v5, v3, v5, v16
	v_lshl_add_u64 v[116:117], v[18:19], 4, v[100:101]
	s_mov_b64 s[18:19], 0
	v_mov_b32_e32 v3, v62
	v_mov_b32_e32 v114, v0
.LBB4_61:                               ;   Parent Loop BB4_24 Depth=1
                                        ; =>  This Inner Loop Header: Depth=2
	global_load_dwordx2 v[118:119], v[4:5], off nt
	v_sub_u32_e32 v3, v3, v22
	v_mov_b32_e32 v19, v17
	v_cmp_gt_i32_e32 vcc, 1, v3
	v_add_u32_e32 v114, v114, v22
	v_lshl_add_u64 v[4:5], v[4:5], 0, v[98:99]
	s_or_b64 s[18:19], vcc, s[18:19]
	s_waitcnt vmcnt(0)
	v_mov_b32_e32 v16, v118
	v_mov_b32_e32 v18, v119
	global_store_dwordx4 v[116:117], v[16:19], off
	v_lshl_add_u64 v[116:117], v[116:117], 0, v[102:103]
	buffer_wbl2 sc0 sc1
	s_waitcnt vmcnt(0)
	s_andn2_b64 exec, exec, s[18:19]
	s_cbranch_execnz .LBB4_61
; %bb.62:                               ;   in Loop: Header=BB4_24 Depth=1
	s_or_b64 exec, exec, s[18:19]
.LBB4_63:                               ;   in Loop: Header=BB4_24 Depth=1
	s_or_b64 exec, exec, s[16:17]
	v_and_b32_e32 v4, 0x7ffffff8, v20
	v_mov_b32_e32 v5, v2
	v_cmp_eq_u64_e32 vcc, s[44:45], v[4:5]
	v_cmp_lt_i32_e64 s[16:17], v114, v58
	s_and_b64 s[18:19], vcc, s[16:17]
	s_and_saveexec_b64 s[16:17], s[18:19]
	s_cbranch_execz .LBB4_66
; %bb.64:                               ;   in Loop: Header=BB4_24 Depth=1
	v_mul_lo_u32 v4, v115, v58
	v_ashrrev_i32_e32 v5, 31, v4
	v_ashrrev_i32_e32 v115, 31, v114
	v_lshlrev_b64 v[4:5], 4, v[4:5]
	v_lshl_add_u64 v[4:5], v[114:115], 4, v[4:5]
	s_waitcnt vmcnt(0) lgkmcnt(0)
	v_mov_b32_e32 v3, v17
	v_lshl_add_u64 v[16:17], v[38:39], 0, v[4:5]
	s_mov_b64 s[18:19], 0
.LBB4_65:                               ;   Parent Loop BB4_24 Depth=1
                                        ; =>  This Inner Loop Header: Depth=2
	v_add_u32_e32 v114, v114, v22
	v_mov_b32_e32 v4, v2
	v_mov_b32_e32 v5, v3
	v_cmp_ge_i32_e32 vcc, v114, v58
	global_store_dwordx4 v[16:17], v[2:5], off
	s_or_b64 s[18:19], vcc, s[18:19]
	v_lshl_add_u64 v[16:17], v[16:17], 0, v[102:103]
	buffer_wbl2 sc0 sc1
	s_waitcnt vmcnt(0)
	s_andn2_b64 exec, exec, s[18:19]
	s_cbranch_execnz .LBB4_65
.LBB4_66:                               ;   in Loop: Header=BB4_24 Depth=1
	s_or_b64 exec, exec, s[16:17]
	v_lshl_add_u64 v[114:115], v[112:113], 0, v[26:27]
	s_andn2_b64 vcc, exec, s[42:43]
	v_lshl_add_u64 v[116:117], v[20:21], 0, 1
	s_cbranch_vccnz .LBB4_146
; %bb.67:                               ;   in Loop: Header=BB4_24 Depth=1
	v_lshl_add_u64 v[118:119], v[114:115], 3, v[82:83]
	v_add_u16_e32 v63, 1, v20
	s_mov_b32 s21, 2
	s_branch .LBB4_69
.LBB4_68:                               ;   in Loop: Header=BB4_69 Depth=2
	s_or_b64 exec, exec, s[16:17]
	s_add_i32 s21, s21, 1
	v_lshl_add_u64 v[36:37], v[36:37], 0, 1
	v_lshl_add_u64 v[116:117], v[116:117], 0, 1
	s_cmp_eq_u32 s21, s20
	v_add_u16_e32 v63, 1, v63
	s_cbranch_scc1 .LBB4_146
.LBB4_69:                               ;   Parent Loop BB4_24 Depth=1
                                        ; =>  This Loop Header: Depth=2
                                        ;       Child Loop BB4_74 Depth 3
                                        ;       Child Loop BB4_93 Depth 3
	;; [unrolled: 1-line block ×3, first 2 shown]
                                        ;         Child Loop BB4_120 Depth 4
                                        ;       Child Loop BB4_135 Depth 3
                                        ;       Child Loop BB4_110 Depth 3
	s_sub_i32 s26, s20, s21
	s_lshl_b64 s[16:17], s[26:27], 2
	v_lshl_add_u64 v[4:5], v[24:25], 0, s[16:17]
	s_waitcnt vmcnt(0) lgkmcnt(0)
	flat_load_dword v3, v[4:5]
	s_and_saveexec_b64 s[18:19], s[2:3]
	s_cbranch_execz .LBB4_85
; %bb.70:                               ;   in Loop: Header=BB4_69 Depth=2
	v_lshl_add_u64 v[4:5], v[14:15], 0, 1
	v_lshl_add_u64 v[16:17], v[64:65], 0, 8
	v_cmp_lt_u64_e32 vcc, v[16:17], v[4:5]
	s_and_saveexec_b64 s[46:47], vcc
	s_cbranch_execz .LBB4_82
; %bb.71:                               ;   in Loop: Header=BB4_69 Depth=2
	s_mov_b32 s26, 0
	v_cmp_eq_u32_e32 vcc, 0, v60
	s_mov_b64 s[56:57], 0
                                        ; implicit-def: $sgpr58_sgpr59
                                        ; implicit-def: $sgpr60_sgpr61
                                        ; implicit-def: $sgpr62_sgpr63
	s_branch .LBB4_74
.LBB4_72:                               ;   in Loop: Header=BB4_74 Depth=3
	s_or_b64 exec, exec, s[88:89]
	s_andn2_b64 s[16:17], s[62:63], exec
	s_and_b64 s[62:63], s[76:77], exec
	s_or_b64 s[62:63], s[16:17], s[62:63]
	s_andn2_b64 s[16:17], s[60:61], exec
	s_and_b64 s[60:61], s[74:75], exec
	v_mov_b32_e32 v16, 0
	s_or_b64 s[60:61], s[16:17], s[60:61]
.LBB4_73:                               ;   in Loop: Header=BB4_74 Depth=3
	s_or_b64 exec, exec, s[72:73]
	s_and_b64 s[16:17], exec, s[60:61]
	s_or_b64 s[56:57], s[16:17], s[56:57]
	s_andn2_b64 s[16:17], s[58:59], exec
	s_and_b64 s[58:59], s[62:63], exec
	s_or_b64 s[58:59], s[16:17], s[58:59]
	s_andn2_b64 exec, exec, s[56:57]
	s_cbranch_execz .LBB4_79
.LBB4_74:                               ;   Parent Loop BB4_24 Depth=1
                                        ;     Parent Loop BB4_69 Depth=2
                                        ; =>    This Inner Loop Header: Depth=3
	s_sleep 1
	s_waitcnt vmcnt(0) lgkmcnt(0)
	flat_load_dwordx2 v[64:65], v[52:53] sc1
	s_or_b64 s[62:63], s[62:63], exec
	s_or_b64 s[60:61], s[60:61], exec
	v_mov_b32_e32 v16, v60
                                        ; implicit-def: $vgpr15
	s_and_saveexec_b64 s[72:73], vcc
	s_cbranch_execz .LBB4_73
; %bb.75:                               ;   in Loop: Header=BB4_74 Depth=3
	s_add_i32 s26, s26, 1
	s_cmpk_lg_i32 s26, 0x2710
	s_cselect_b64 s[78:79], -1, 0
	s_cmpk_eq_i32 s26, 0x2710
	s_mov_b64 s[74:75], -1
	s_mov_b64 s[76:77], -1
                                        ; implicit-def: $vgpr15
	s_cbranch_scc1 .LBB4_77
; %bb.76:                               ;   in Loop: Header=BB4_74 Depth=3
	s_and_saveexec_b64 s[88:89], s[78:79]
	s_cbranch_execz .LBB4_72
	s_branch .LBB4_78
.LBB4_77:                               ;   in Loop: Header=BB4_74 Depth=3
	s_trap 2
	ds_read_b64 v[16:17], v0
	s_andn2_b64 s[78:79], s[78:79], exec
	s_mov_b32 s26, 0
	s_mov_b64 s[76:77], 0
	s_waitcnt vmcnt(0) lgkmcnt(0)
	flat_load_dword v15, v[16:17] sc0 sc1
	s_waitcnt vmcnt(0) lgkmcnt(0)
	buffer_inv sc0 sc1
	v_cmp_eq_u32_e64 s[16:17], 0, v15
	s_and_b64 s[16:17], s[16:17], exec
	s_or_b64 s[78:79], s[78:79], s[16:17]
	s_and_saveexec_b64 s[88:89], s[78:79]
	s_cbranch_execz .LBB4_72
.LBB4_78:                               ;   in Loop: Header=BB4_74 Depth=3
	s_waitcnt vmcnt(0) lgkmcnt(0)
	v_lshl_add_u64 v[16:17], v[64:65], 0, 8
	v_cmp_ge_u64_e64 s[16:17], v[16:17], v[4:5]
	s_or_b64 s[76:77], s[76:77], exec
	s_orn2_b64 s[74:75], s[16:17], exec
	s_branch .LBB4_72
.LBB4_79:                               ;   in Loop: Header=BB4_69 Depth=2
	s_or_b64 exec, exec, s[56:57]
	s_xor_b64 s[16:17], s[58:59], -1
	s_and_saveexec_b64 s[56:57], s[16:17]
	s_xor_b64 s[16:17], exec, s[56:57]
	s_cbranch_execz .LBB4_81
; %bb.80:                               ;   in Loop: Header=BB4_69 Depth=2
	v_mov_b32_e32 v16, 1
	s_waitcnt lgkmcnt(0)
	ds_write_b32 v0, v15
	s_trap 2
.LBB4_81:                               ;   in Loop: Header=BB4_69 Depth=2
	s_or_b64 exec, exec, s[16:17]
	v_mov_b32_e32 v60, v16
.LBB4_82:                               ;   in Loop: Header=BB4_69 Depth=2
	s_or_b64 exec, exec, s[46:47]
	s_and_saveexec_b64 s[16:17], s[4:5]
	s_cbranch_execz .LBB4_84
; %bb.83:                               ;   in Loop: Header=BB4_69 Depth=2
	v_and_b32_e32 v16, 0x7ffffff8, v14
	v_mov_b32_e32 v17, v2
	v_cmp_eq_u64_e32 vcc, s[44:45], v[16:17]
	v_and_b32_e32 v14, 7, v14
	s_nop 0
	v_cndmask_b32_e32 v15, v61, v58, vcc
	v_lshlrev_b32_e32 v16, 4, v15
	v_ashrrev_i32_e32 v17, 31, v16
	v_mad_u64_u32 v[14:15], s[46:47], v14, 24, v[12:13]
	flat_store_dwordx2 v[14:15], v[16:17] offset:8 sc0 sc1
	s_waitcnt vmcnt(0)
.LBB4_84:                               ;   in Loop: Header=BB4_69 Depth=2
	s_or_b64 exec, exec, s[16:17]
	v_mov_b64_e32 v[14:15], v[4:5]
.LBB4_85:                               ;   in Loop: Header=BB4_69 Depth=2
	s_or_b64 exec, exec, s[18:19]
	s_and_saveexec_b64 s[16:17], s[6:7]
	s_cbranch_execz .LBB4_104
; %bb.86:                               ;   in Loop: Header=BB4_69 Depth=2
	s_and_saveexec_b64 s[18:19], s[40:41]
	s_xor_b64 s[18:19], exec, s[18:19]
	s_cbranch_execz .LBB4_101
; %bb.87:                               ;   in Loop: Header=BB4_69 Depth=2
	s_and_saveexec_b64 s[46:47], s[8:9]
	s_cbranch_execz .LBB4_100
; %bb.88:                               ;   in Loop: Header=BB4_69 Depth=2
	s_mov_b64 s[58:59], exec
	v_mbcnt_lo_u32_b32 v4, s58, 0
	v_mbcnt_hi_u32_b32 v4, s59, v4
	v_cmp_eq_u32_e32 vcc, 0, v4
	buffer_wbl2 sc1
	s_waitcnt vmcnt(0) lgkmcnt(0)
	buffer_inv sc1
	s_and_saveexec_b64 s[56:57], vcc
	s_cbranch_execz .LBB4_90
; %bb.89:                               ;   in Loop: Header=BB4_69 Depth=2
	s_bcnt1_i32_b64 s26, s[58:59]
	v_mov_b32_e32 v4, s26
	v_mov_b32_e32 v5, v2
	ds_add_u64 v0, v[4:5]
	s_trap 2
.LBB4_90:                               ;   in Loop: Header=BB4_69 Depth=2
	s_or_b64 exec, exec, s[56:57]
	s_trap 2
	ds_read_b64 v[4:5], v0
	s_waitcnt lgkmcnt(0)
	v_lshl_add_u64 v[54:55], v[54:55], 0, v[80:81]
	v_cmp_lt_u64_e32 vcc, v[4:5], v[54:55]
	s_and_saveexec_b64 s[56:57], vcc
	s_cbranch_execz .LBB4_99
; %bb.91:                               ;   in Loop: Header=BB4_69 Depth=2
	s_mov_b32 s26, 0
	s_mov_b64 s[58:59], 0
                                        ; implicit-def: $sgpr60_sgpr61
                                        ; implicit-def: $sgpr62_sgpr63
	s_branch .LBB4_93
.LBB4_92:                               ;   in Loop: Header=BB4_93 Depth=3
	s_or_b64 exec, exec, s[74:75]
	s_and_b64 s[72:73], exec, s[76:77]
	s_or_b64 s[58:59], s[72:73], s[58:59]
	s_andn2_b64 s[60:61], s[60:61], exec
	s_and_b64 s[72:73], s[62:63], exec
	s_or_b64 s[60:61], s[60:61], s[72:73]
	s_andn2_b64 exec, exec, s[58:59]
	s_cbranch_execz .LBB4_97
.LBB4_93:                               ;   Parent Loop BB4_24 Depth=1
                                        ;     Parent Loop BB4_69 Depth=2
                                        ; =>    This Inner Loop Header: Depth=3
	s_add_i32 s26, s26, 1
	s_cmpk_lg_i32 s26, 0x2710
	s_cselect_b64 s[72:73], -1, 0
	s_and_b64 vcc, exec, s[72:73]
	s_cbranch_vccz .LBB4_95
; %bb.94:                               ;   in Loop: Header=BB4_93 Depth=3
	s_mov_b64 s[76:77], -1
	s_or_b64 s[62:63], s[62:63], exec
	s_and_saveexec_b64 s[74:75], s[72:73]
	s_cbranch_execz .LBB4_92
	s_branch .LBB4_96
.LBB4_95:                               ;   in Loop: Header=BB4_93 Depth=3
	s_trap 2
	ds_read_b64 v[4:5], v0
	s_andn2_b64 s[72:73], s[72:73], exec
	s_mov_b32 s26, 0
	s_waitcnt lgkmcnt(0)
	flat_load_dword v4, v[4:5] sc0 sc1
	s_waitcnt vmcnt(0) lgkmcnt(0)
	buffer_inv sc0 sc1
	v_cmp_eq_u32_e32 vcc, 0, v4
	s_and_b64 s[74:75], vcc, exec
	s_or_b64 s[72:73], s[72:73], s[74:75]
	s_mov_b64 s[76:77], -1
	s_or_b64 s[62:63], s[62:63], exec
	s_and_saveexec_b64 s[74:75], s[72:73]
	s_cbranch_execz .LBB4_92
.LBB4_96:                               ;   in Loop: Header=BB4_93 Depth=3
	s_sleep 1
	s_trap 2
	ds_read_b64 v[4:5], v0
	s_waitcnt lgkmcnt(0)
	s_andn2_b64 s[62:63], s[62:63], exec
	v_cmp_ge_u64_e32 vcc, v[4:5], v[54:55]
	s_orn2_b64 s[76:77], vcc, exec
	s_branch .LBB4_92
.LBB4_97:                               ;   in Loop: Header=BB4_69 Depth=2
	s_or_b64 exec, exec, s[58:59]
	s_and_saveexec_b64 s[58:59], s[60:61]
	s_xor_b64 s[58:59], exec, s[58:59]
	s_cbranch_execz .LBB4_99
; %bb.98:                               ;   in Loop: Header=BB4_69 Depth=2
	ds_write_b32 v0, v59
	s_trap 2
.LBB4_99:                               ;   in Loop: Header=BB4_69 Depth=2
	s_or_b64 exec, exec, s[56:57]
	;;#ASMSTART
	s_wakeup
	;;#ASMEND
.LBB4_100:                              ;   in Loop: Header=BB4_69 Depth=2
	s_or_b64 exec, exec, s[46:47]
.LBB4_101:                              ;   in Loop: Header=BB4_69 Depth=2
	s_andn2_saveexec_b64 s[18:19], s[18:19]
	s_cbranch_execz .LBB4_103
; %bb.102:                              ;   in Loop: Header=BB4_69 Depth=2
	buffer_wbl2 sc1
	s_waitcnt vmcnt(0) lgkmcnt(0)
	buffer_inv sc1
	s_barrier
.LBB4_103:                              ;   in Loop: Header=BB4_69 Depth=2
	s_or_b64 exec, exec, s[18:19]
.LBB4_104:                              ;   in Loop: Header=BB4_69 Depth=2
	s_or_b64 exec, exec, s[16:17]
	v_add_u32_e32 v17, 1, v116
	v_mov_b32_e32 v40, v0
	s_and_saveexec_b64 s[46:47], s[14:15]
	s_cbranch_execnz .LBB4_111
; %bb.105:                              ;   in Loop: Header=BB4_69 Depth=2
	s_or_b64 exec, exec, s[46:47]
	s_and_saveexec_b64 s[16:17], s[6:7]
	s_cbranch_execnz .LBB4_128
.LBB4_106:                              ;   in Loop: Header=BB4_69 Depth=2
	s_or_b64 exec, exec, s[16:17]
	s_and_saveexec_b64 s[16:17], s[10:11]
	s_cbranch_execz .LBB4_108
.LBB4_107:                              ;   in Loop: Header=BB4_69 Depth=2
	v_lshl_add_u64 v[48:49], v[48:49], 0, 1
	flat_store_dwordx2 v[50:51], v[48:49] sc0 sc1
.LBB4_108:                              ;   in Loop: Header=BB4_69 Depth=2
	s_or_b64 exec, exec, s[16:17]
	v_and_b32_e32 v4, 0x7ffffff8, v116
	v_mov_b32_e32 v5, v2
	v_cmp_eq_u64_e32 vcc, s[44:45], v[4:5]
	v_cmp_lt_i32_e64 s[16:17], v40, v58
	s_and_b64 s[18:19], vcc, s[16:17]
	s_and_saveexec_b64 s[16:17], s[18:19]
	s_cbranch_execz .LBB4_68
; %bb.109:                              ;   in Loop: Header=BB4_69 Depth=2
	s_waitcnt vmcnt(0) lgkmcnt(0)
	v_and_b32_e32 v3, 7, v63
	v_mul_lo_u32 v4, v58, v3
	v_ashrrev_i32_e32 v5, 31, v4
	v_lshlrev_b64 v[4:5], 4, v[4:5]
	v_ashrrev_i32_e32 v41, 31, v40
	v_lshl_add_u64 v[4:5], v[40:41], 4, v[4:5]
	v_mov_b32_e32 v3, v17
	v_lshl_add_u64 v[16:17], v[38:39], 0, v[4:5]
	s_mov_b64 s[18:19], 0
.LBB4_110:                              ;   Parent Loop BB4_24 Depth=1
                                        ;     Parent Loop BB4_69 Depth=2
                                        ; =>    This Inner Loop Header: Depth=3
	v_add_u32_e32 v40, v40, v22
	v_mov_b32_e32 v4, v2
	v_mov_b32_e32 v5, v3
	v_cmp_ge_i32_e32 vcc, v40, v58
	global_store_dwordx4 v[16:17], v[2:5], off
	s_or_b64 s[18:19], vcc, s[18:19]
	v_lshl_add_u64 v[16:17], v[16:17], 0, v[102:103]
	buffer_wbl2 sc0 sc1
	s_waitcnt vmcnt(0)
	s_andn2_b64 exec, exec, s[18:19]
	s_cbranch_execnz .LBB4_110
	s_branch .LBB4_68
.LBB4_111:                              ;   in Loop: Header=BB4_69 Depth=2
	s_waitcnt vmcnt(0) lgkmcnt(0)
	v_ashrrev_i32_e32 v4, 31, v3
	v_mul_lo_u32 v16, v69, v3
	v_mul_lo_u32 v18, v68, v4
	v_mad_u64_u32 v[4:5], s[16:17], v68, v3, 0
	v_and_b32_e32 v3, 7, v36
	v_add3_u32 v5, v5, v18, v16
	v_mul_lo_u32 v18, v3, v58
	v_ashrrev_i32_e32 v19, 31, v18
	v_and_b32_e32 v16, 7, v116
	v_lshl_add_u64 v[42:43], v[18:19], 4, v[34:35]
	v_mul_lo_u32 v18, v16, v58
	v_ashrrev_i32_e32 v19, 31, v18
	v_lshl_add_u64 v[4:5], v[4:5], 3, v[118:119]
	v_add_u32_e32 v3, 1, v36
	v_lshl_add_u64 v[44:45], v[18:19], 4, v[38:39]
	s_mov_b64 s[56:57], 0
	v_mov_b32_e32 v73, v60
	v_mov_b32_e32 v72, v62
	;; [unrolled: 1-line block ×3, first 2 shown]
	s_branch .LBB4_115
.LBB4_112:                              ;   in Loop: Header=BB4_115 Depth=3
	s_or_b64 exec, exec, s[16:17]
.LBB4_113:                              ;   in Loop: Header=BB4_115 Depth=3
	s_or_b64 exec, exec, s[60:61]
.LBB4_114:                              ;   in Loop: Header=BB4_115 Depth=3
	s_or_b64 exec, exec, s[58:59]
	s_waitcnt vmcnt(0)
	v_mov_b32_e32 v19, v20
	v_sub_u32_e32 v72, v72, v22
	v_mul_f64 v[18:19], v[46:47], v[18:19]
	v_cmp_gt_i32_e32 vcc, 1, v72
	v_lshl_add_u64 v[4:5], v[22:23], 3, v[4:5]
	v_lshl_add_u64 v[20:21], v[40:41], 4, v[44:45]
	v_mov_b32_e32 v16, v18
	v_mov_b32_e32 v18, v19
	;; [unrolled: 1-line block ×3, first 2 shown]
	s_or_b64 s[56:57], vcc, s[56:57]
	v_add_u32_e32 v40, v40, v22
	global_store_dwordx4 v[20:21], v[16:19], off
	buffer_wbl2 sc0 sc1
	s_waitcnt vmcnt(0) lgkmcnt(0)
	s_andn2_b64 exec, exec, s[56:57]
	s_cbranch_execz .LBB4_127
.LBB4_115:                              ;   Parent Loop BB4_24 Depth=1
                                        ;     Parent Loop BB4_69 Depth=2
                                        ; =>    This Loop Header: Depth=3
                                        ;         Child Loop BB4_120 Depth 4
	v_ashrrev_i32_e32 v41, 31, v40
	v_lshl_add_u64 v[56:57], v[40:41], 4, v[42:43]
	global_load_dwordx2 v[46:47], v[4:5], off nt
	global_load_dwordx4 v[18:21], v[56:57], off nt
	v_cmp_eq_u32_e32 vcc, 0, v73
	s_and_saveexec_b64 s[58:59], vcc
	s_cbranch_execz .LBB4_114
; %bb.116:                              ;   in Loop: Header=BB4_115 Depth=3
	s_waitcnt vmcnt(0)
	v_cmp_ne_u32_e32 vcc, v3, v19
	v_cmp_ne_u32_e64 s[16:17], v3, v21
	s_or_b64 s[16:17], vcc, s[16:17]
	v_mov_b32_e32 v73, 0
	s_and_saveexec_b64 s[60:61], s[16:17]
	s_cbranch_execz .LBB4_113
; %bb.117:                              ;   in Loop: Header=BB4_115 Depth=3
	v_mov_b32_e32 v73, 0
	v_cmp_eq_u32_e64 s[16:17], 0, v60
	s_mov_b32 s26, 1
	s_mov_b64 s[72:73], 0
                                        ; implicit-def: $sgpr62_sgpr63
                                        ; implicit-def: $sgpr74_sgpr75
	s_branch .LBB4_120
.LBB4_118:                              ;   in Loop: Header=BB4_120 Depth=4
	s_or_b64 exec, exec, s[76:77]
	s_andn2_b64 s[74:75], s[74:75], exec
	s_orn2_b64 s[18:19], s[18:19], exec
.LBB4_119:                              ;   in Loop: Header=BB4_120 Depth=4
	s_or_b64 exec, exec, s[88:89]
	s_and_b64 s[18:19], exec, s[18:19]
	s_or_b64 s[72:73], s[18:19], s[72:73]
	s_andn2_b64 s[18:19], s[62:63], exec
	s_and_b64 s[62:63], s[74:75], exec
	s_or_b64 s[62:63], s[18:19], s[62:63]
	s_andn2_b64 exec, exec, s[72:73]
	s_cbranch_execz .LBB4_125
.LBB4_120:                              ;   Parent Loop BB4_24 Depth=1
                                        ;     Parent Loop BB4_69 Depth=2
                                        ;       Parent Loop BB4_115 Depth=3
                                        ; =>      This Inner Loop Header: Depth=4
	global_load_dwordx4 v[18:21], v[56:57], off nt
	s_add_i32 s26, s26, 1
	s_cmpk_lg_i32 s26, 0x2710
	s_cselect_b64 s[76:77], -1, 0
	s_mov_b64 s[18:19], -1
	s_and_b64 vcc, exec, s[76:77]
	s_mov_b64 s[78:79], -1
                                        ; implicit-def: $vgpr16
	s_cbranch_vccz .LBB4_122
; %bb.121:                              ;   in Loop: Header=BB4_120 Depth=4
	s_or_b64 s[74:75], s[74:75], exec
	s_and_saveexec_b64 s[88:89], s[76:77]
	s_cbranch_execz .LBB4_119
	s_branch .LBB4_123
.LBB4_122:                              ;   in Loop: Header=BB4_120 Depth=4
	s_trap 2
	ds_read_b64 v[74:75], v0
	s_andn2_b64 s[76:77], s[76:77], exec
	s_mov_b32 s26, 0
	s_orn2_b64 s[78:79], s[16:17], exec
	v_mov_b32_e32 v73, v60
	s_waitcnt vmcnt(0) lgkmcnt(0)
	flat_load_dword v16, v[74:75] sc0 sc1
	s_waitcnt vmcnt(0) lgkmcnt(0)
	buffer_inv sc0 sc1
	v_cmp_eq_u32_e32 vcc, 0, v16
	s_and_b64 s[88:89], vcc, exec
	s_or_b64 s[76:77], s[76:77], s[88:89]
	s_or_b64 s[74:75], s[74:75], exec
	s_and_saveexec_b64 s[88:89], s[76:77]
	s_cbranch_execz .LBB4_119
.LBB4_123:                              ;   in Loop: Header=BB4_120 Depth=4
	s_and_saveexec_b64 s[76:77], s[78:79]
	s_cbranch_execz .LBB4_118
; %bb.124:                              ;   in Loop: Header=BB4_120 Depth=4
	s_waitcnt vmcnt(0)
	v_cmp_eq_u32_e32 vcc, v3, v19
	v_cmp_eq_u32_e64 s[18:19], v3, v21
	s_and_b64 s[18:19], vcc, s[18:19]
	s_orn2_b64 s[18:19], s[18:19], exec
	s_branch .LBB4_118
.LBB4_125:                              ;   in Loop: Header=BB4_115 Depth=3
	s_or_b64 exec, exec, s[72:73]
	s_and_saveexec_b64 s[16:17], s[62:63]
	s_xor_b64 s[16:17], exec, s[16:17]
	s_cbranch_execz .LBB4_112
; %bb.126:                              ;   in Loop: Header=BB4_115 Depth=3
	v_or_b32_e32 v73, 1, v60
	v_mov_b32_e32 v60, v73
	ds_write_b32 v0, v16
	s_trap 2
	s_branch .LBB4_112
.LBB4_127:                              ;   in Loop: Header=BB4_69 Depth=2
	s_or_b64 exec, exec, s[56:57]
	s_or_b64 exec, exec, s[46:47]
	s_and_saveexec_b64 s[16:17], s[6:7]
	s_cbranch_execz .LBB4_106
.LBB4_128:                              ;   in Loop: Header=BB4_69 Depth=2
	s_and_saveexec_b64 s[18:19], s[40:41]
	s_xor_b64 s[18:19], exec, s[18:19]
	s_cbranch_execz .LBB4_143
; %bb.129:                              ;   in Loop: Header=BB4_69 Depth=2
	s_and_saveexec_b64 s[46:47], s[8:9]
	s_cbranch_execz .LBB4_142
; %bb.130:                              ;   in Loop: Header=BB4_69 Depth=2
	s_mov_b64 s[58:59], exec
	s_waitcnt vmcnt(0) lgkmcnt(0)
	v_mbcnt_lo_u32_b32 v3, s58, 0
	v_mbcnt_hi_u32_b32 v3, s59, v3
	v_cmp_eq_u32_e32 vcc, 0, v3
	buffer_wbl2 sc1
	buffer_inv sc1
	s_and_saveexec_b64 s[56:57], vcc
	s_cbranch_execz .LBB4_132
; %bb.131:                              ;   in Loop: Header=BB4_69 Depth=2
	s_bcnt1_i32_b64 s26, s[58:59]
	v_mov_b32_e32 v4, s26
	v_mov_b32_e32 v5, v2
	ds_add_u64 v0, v[4:5]
	s_trap 2
.LBB4_132:                              ;   in Loop: Header=BB4_69 Depth=2
	s_or_b64 exec, exec, s[56:57]
	s_trap 2
	ds_read_b64 v[4:5], v0
	s_waitcnt lgkmcnt(0)
	v_lshl_add_u64 v[54:55], v[54:55], 0, v[80:81]
	v_cmp_lt_u64_e32 vcc, v[4:5], v[54:55]
	s_and_saveexec_b64 s[56:57], vcc
	s_cbranch_execz .LBB4_141
; %bb.133:                              ;   in Loop: Header=BB4_69 Depth=2
	s_mov_b32 s26, 0
	s_mov_b64 s[58:59], 0
                                        ; implicit-def: $sgpr60_sgpr61
                                        ; implicit-def: $sgpr62_sgpr63
	s_branch .LBB4_135
.LBB4_134:                              ;   in Loop: Header=BB4_135 Depth=3
	s_or_b64 exec, exec, s[74:75]
	s_and_b64 s[72:73], exec, s[76:77]
	s_or_b64 s[58:59], s[72:73], s[58:59]
	s_andn2_b64 s[60:61], s[60:61], exec
	s_and_b64 s[72:73], s[62:63], exec
	s_or_b64 s[60:61], s[60:61], s[72:73]
	s_andn2_b64 exec, exec, s[58:59]
	s_cbranch_execz .LBB4_139
.LBB4_135:                              ;   Parent Loop BB4_24 Depth=1
                                        ;     Parent Loop BB4_69 Depth=2
                                        ; =>    This Inner Loop Header: Depth=3
	s_add_i32 s26, s26, 1
	s_cmpk_lg_i32 s26, 0x2710
	s_cselect_b64 s[72:73], -1, 0
	s_and_b64 vcc, exec, s[72:73]
	s_cbranch_vccz .LBB4_137
; %bb.136:                              ;   in Loop: Header=BB4_135 Depth=3
	s_mov_b64 s[76:77], -1
	s_or_b64 s[62:63], s[62:63], exec
	s_and_saveexec_b64 s[74:75], s[72:73]
	s_cbranch_execz .LBB4_134
	s_branch .LBB4_138
.LBB4_137:                              ;   in Loop: Header=BB4_135 Depth=3
	s_trap 2
	ds_read_b64 v[4:5], v0
	s_andn2_b64 s[72:73], s[72:73], exec
	s_mov_b32 s26, 0
	s_waitcnt lgkmcnt(0)
	flat_load_dword v3, v[4:5] sc0 sc1
	s_waitcnt vmcnt(0) lgkmcnt(0)
	buffer_inv sc0 sc1
	v_cmp_eq_u32_e32 vcc, 0, v3
	s_and_b64 s[74:75], vcc, exec
	s_or_b64 s[72:73], s[72:73], s[74:75]
	s_mov_b64 s[76:77], -1
	s_or_b64 s[62:63], s[62:63], exec
	s_and_saveexec_b64 s[74:75], s[72:73]
	s_cbranch_execz .LBB4_134
.LBB4_138:                              ;   in Loop: Header=BB4_135 Depth=3
	s_sleep 1
	s_trap 2
	ds_read_b64 v[4:5], v0
	s_waitcnt lgkmcnt(0)
	s_andn2_b64 s[62:63], s[62:63], exec
	v_cmp_ge_u64_e32 vcc, v[4:5], v[54:55]
	s_orn2_b64 s[76:77], vcc, exec
	s_branch .LBB4_134
.LBB4_139:                              ;   in Loop: Header=BB4_69 Depth=2
	s_or_b64 exec, exec, s[58:59]
	s_and_saveexec_b64 s[58:59], s[60:61]
	s_xor_b64 s[58:59], exec, s[58:59]
	s_cbranch_execz .LBB4_141
; %bb.140:                              ;   in Loop: Header=BB4_69 Depth=2
	ds_write_b32 v0, v59
	s_trap 2
.LBB4_141:                              ;   in Loop: Header=BB4_69 Depth=2
	s_or_b64 exec, exec, s[56:57]
	;;#ASMSTART
	s_wakeup
	;;#ASMEND
.LBB4_142:                              ;   in Loop: Header=BB4_69 Depth=2
	s_or_b64 exec, exec, s[46:47]
.LBB4_143:                              ;   in Loop: Header=BB4_69 Depth=2
	s_andn2_saveexec_b64 s[18:19], s[18:19]
	s_cbranch_execz .LBB4_145
; %bb.144:                              ;   in Loop: Header=BB4_69 Depth=2
	buffer_wbl2 sc1
	s_waitcnt vmcnt(0) lgkmcnt(0)
	buffer_inv sc1
	s_barrier
.LBB4_145:                              ;   in Loop: Header=BB4_69 Depth=2
	s_or_b64 exec, exec, s[18:19]
	s_or_b64 exec, exec, s[16:17]
	s_and_saveexec_b64 s[16:17], s[10:11]
	s_cbranch_execnz .LBB4_107
	s_branch .LBB4_108
.LBB4_146:                              ;   in Loop: Header=BB4_24 Depth=1
	v_mov_b64_e32 v[20:21], v[116:117]
	s_and_saveexec_b64 s[18:19], s[14:15]
	s_cbranch_execnz .LBB4_149
; %bb.147:                              ;   in Loop: Header=BB4_24 Depth=1
	s_or_b64 exec, exec, s[18:19]
	s_and_saveexec_b64 s[14:15], s[6:7]
	s_cbranch_execnz .LBB4_170
.LBB4_148:                              ;   in Loop: Header=BB4_24 Depth=1
	s_or_b64 exec, exec, s[14:15]
	s_and_saveexec_b64 s[14:15], s[10:11]
	s_cbranch_execz .LBB4_23
	s_branch .LBB4_188
.LBB4_149:                              ;   in Loop: Header=BB4_24 Depth=1
	flat_load_dword v116, v[24:25]
	v_and_b32_e32 v18, 7, v36
	v_mul_lo_u32 v18, v18, v58
	v_ashrrev_i32_e32 v19, 31, v18
	v_lshlrev_b64 v[4:5], 3, v[114:115]
	v_lshl_add_u64 v[114:115], v[18:19], 4, v[34:35]
	v_lshl_add_u64 v[16:17], v[10:11], 0, v[4:5]
	s_waitcnt vmcnt(0) lgkmcnt(0)
	v_add_u32_e32 v3, 1, v36
	s_mov_b64 s[46:47], 0
	v_mov_b32_e32 v44, v60
	v_lshl_add_u64 v[4:5], v[84:85], 0, v[4:5]
	v_ashrrev_i32_e32 v117, 31, v116
	v_mul_lo_u32 v118, v69, v116
	v_mad_u64_u32 v[18:19], s[14:15], v68, v116, 0
	v_mul_lo_u32 v116, v68, v117
	v_add3_u32 v19, v19, v116, v118
	v_lshl_add_u64 v[16:17], v[18:19], 3, v[16:17]
	v_lshl_add_u64 v[116:117], v[0:1], 3, v[16:17]
	v_mov_b32_e32 v118, v0
	s_branch .LBB4_151
.LBB4_150:                              ;   in Loop: Header=BB4_151 Depth=2
	v_sub_u32_e32 v62, v62, v22
	v_cmp_gt_i32_e32 vcc, 1, v62
	v_lshl_add_u64 v[116:117], v[116:117], 0, v[98:99]
	v_lshl_add_u64 v[4:5], v[4:5], 0, v[98:99]
	s_or_b64 s[46:47], vcc, s[46:47]
	v_add_u32_e32 v118, v118, v22
	s_andn2_b64 exec, exec, s[46:47]
	s_cbranch_execz .LBB4_169
.LBB4_151:                              ;   Parent Loop BB4_24 Depth=1
                                        ; =>  This Loop Header: Depth=2
                                        ;       Child Loop BB4_156 Depth 3
	v_ashrrev_i32_e32 v119, 31, v118
	v_lshl_add_u64 v[42:43], v[118:119], 4, v[114:115]
	global_load_dwordx2 v[40:41], v[116:117], off nt
	global_load_dwordx4 v[16:19], v[42:43], off nt
	v_cmp_eq_u32_e32 vcc, 0, v44
	s_and_saveexec_b64 s[56:57], vcc
	s_cbranch_execz .LBB4_165
; %bb.152:                              ;   in Loop: Header=BB4_151 Depth=2
	s_waitcnt vmcnt(0)
	v_cmp_ne_u32_e32 vcc, v3, v17
	v_cmp_ne_u32_e64 s[14:15], v3, v19
	s_or_b64 s[14:15], vcc, s[14:15]
	v_mov_b32_e32 v44, 0
	s_and_saveexec_b64 s[58:59], s[14:15]
	s_cbranch_execz .LBB4_164
; %bb.153:                              ;   in Loop: Header=BB4_151 Depth=2
	v_mov_b32_e32 v44, 0
	v_cmp_eq_u32_e64 s[14:15], 0, v60
	s_mov_b32 s21, 1
	s_mov_b64 s[62:63], 0
                                        ; implicit-def: $sgpr60_sgpr61
                                        ; implicit-def: $sgpr72_sgpr73
	s_branch .LBB4_156
.LBB4_154:                              ;   in Loop: Header=BB4_156 Depth=3
	s_or_b64 exec, exec, s[74:75]
	s_andn2_b64 s[72:73], s[72:73], exec
	s_orn2_b64 s[16:17], s[16:17], exec
.LBB4_155:                              ;   in Loop: Header=BB4_156 Depth=3
	s_or_b64 exec, exec, s[78:79]
	s_and_b64 s[16:17], exec, s[16:17]
	s_or_b64 s[62:63], s[16:17], s[62:63]
	s_andn2_b64 s[16:17], s[60:61], exec
	s_and_b64 s[60:61], s[72:73], exec
	s_or_b64 s[60:61], s[16:17], s[60:61]
	s_andn2_b64 exec, exec, s[62:63]
	s_cbranch_execz .LBB4_161
.LBB4_156:                              ;   Parent Loop BB4_24 Depth=1
                                        ;     Parent Loop BB4_151 Depth=2
                                        ; =>    This Inner Loop Header: Depth=3
	global_load_dwordx4 v[16:19], v[42:43], off nt
	s_add_i32 s21, s21, 1
	s_cmpk_lg_i32 s21, 0x2710
	s_cselect_b64 s[74:75], -1, 0
	s_mov_b64 s[16:17], -1
	s_and_b64 vcc, exec, s[74:75]
	s_mov_b64 s[76:77], -1
                                        ; implicit-def: $vgpr119
	s_cbranch_vccz .LBB4_158
; %bb.157:                              ;   in Loop: Header=BB4_156 Depth=3
	s_or_b64 s[72:73], s[72:73], exec
	s_and_saveexec_b64 s[78:79], s[74:75]
	s_cbranch_execz .LBB4_155
	s_branch .LBB4_159
.LBB4_158:                              ;   in Loop: Header=BB4_156 Depth=3
	s_trap 2
	ds_read_b64 v[44:45], v0
	s_andn2_b64 s[74:75], s[74:75], exec
	s_mov_b32 s21, 0
	s_orn2_b64 s[76:77], s[14:15], exec
	s_waitcnt vmcnt(0) lgkmcnt(0)
	flat_load_dword v119, v[44:45] sc0 sc1
	s_waitcnt vmcnt(0) lgkmcnt(0)
	buffer_inv sc0 sc1
	v_mov_b32_e32 v44, v60
	v_cmp_eq_u32_e32 vcc, 0, v119
	s_and_b64 s[78:79], vcc, exec
	s_or_b64 s[74:75], s[74:75], s[78:79]
	s_or_b64 s[72:73], s[72:73], exec
	s_and_saveexec_b64 s[78:79], s[74:75]
	s_cbranch_execz .LBB4_155
.LBB4_159:                              ;   in Loop: Header=BB4_156 Depth=3
	s_and_saveexec_b64 s[74:75], s[76:77]
	s_cbranch_execz .LBB4_154
; %bb.160:                              ;   in Loop: Header=BB4_156 Depth=3
	s_waitcnt vmcnt(0)
	v_cmp_eq_u32_e32 vcc, v3, v17
	v_cmp_eq_u32_e64 s[16:17], v3, v19
	s_and_b64 s[16:17], vcc, s[16:17]
	s_orn2_b64 s[16:17], s[16:17], exec
	s_branch .LBB4_154
.LBB4_161:                              ;   in Loop: Header=BB4_151 Depth=2
	s_or_b64 exec, exec, s[62:63]
	s_and_saveexec_b64 s[14:15], s[60:61]
	s_xor_b64 s[14:15], exec, s[14:15]
	s_cbranch_execz .LBB4_163
; %bb.162:                              ;   in Loop: Header=BB4_151 Depth=2
	v_or_b32_e32 v44, 1, v60
	v_mov_b32_e32 v60, v44
	ds_write_b32 v0, v119
	s_trap 2
.LBB4_163:                              ;   in Loop: Header=BB4_151 Depth=2
	s_or_b64 exec, exec, s[14:15]
.LBB4_164:                              ;   in Loop: Header=BB4_151 Depth=2
	s_or_b64 exec, exec, s[58:59]
.LBB4_165:                              ;   in Loop: Header=BB4_151 Depth=2
	s_or_b64 exec, exec, s[56:57]
	s_waitcnt vmcnt(0)
	v_mov_b32_e32 v17, v18
	v_cndmask_b32_e64 v18, 0, 1, s[12:13]
	v_cmp_ne_u32_e32 vcc, 0, v18
	v_mul_f64 v[16:17], v[40:41], v[16:17]
	s_cmp_eq_u64 vcc, exec
	s_mov_b64 s[14:15], -1
	s_cbranch_scc1 .LBB4_167
; %bb.166:                              ;   in Loop: Header=BB4_151 Depth=2
	s_mov_b64 s[14:15], 0
	flat_store_dwordx2 v[4:5], v[16:17]
.LBB4_167:                              ;   in Loop: Header=BB4_151 Depth=2
	s_andn2_b64 vcc, exec, s[14:15]
	s_cbranch_vccnz .LBB4_150
; %bb.168:                              ;   in Loop: Header=BB4_151 Depth=2
	global_store_dwordx2 v[4:5], v[16:17], off
	s_branch .LBB4_150
.LBB4_169:                              ;   in Loop: Header=BB4_24 Depth=1
	s_or_b64 exec, exec, s[46:47]
	s_or_b64 exec, exec, s[18:19]
	s_and_saveexec_b64 s[14:15], s[6:7]
	s_cbranch_execz .LBB4_148
.LBB4_170:                              ;   in Loop: Header=BB4_24 Depth=1
	s_and_saveexec_b64 s[16:17], s[40:41]
	s_xor_b64 s[16:17], exec, s[16:17]
	s_cbranch_execz .LBB4_185
; %bb.171:                              ;   in Loop: Header=BB4_24 Depth=1
	s_and_saveexec_b64 s[18:19], s[8:9]
	s_cbranch_execz .LBB4_184
; %bb.172:                              ;   in Loop: Header=BB4_24 Depth=1
	s_mov_b64 s[56:57], exec
	s_waitcnt vmcnt(0) lgkmcnt(0)
	v_mbcnt_lo_u32_b32 v3, s56, 0
	v_mbcnt_hi_u32_b32 v3, s57, v3
	v_cmp_eq_u32_e32 vcc, 0, v3
	buffer_wbl2 sc1
	buffer_inv sc1
	s_and_saveexec_b64 s[46:47], vcc
	s_cbranch_execz .LBB4_174
; %bb.173:                              ;   in Loop: Header=BB4_24 Depth=1
	s_bcnt1_i32_b64 s21, s[56:57]
	v_mov_b32_e32 v4, s21
	v_mov_b32_e32 v5, v2
	ds_add_u64 v0, v[4:5]
	s_trap 2
.LBB4_174:                              ;   in Loop: Header=BB4_24 Depth=1
	s_or_b64 exec, exec, s[46:47]
	s_trap 2
	ds_read_b64 v[4:5], v0
	s_waitcnt lgkmcnt(0)
	v_lshl_add_u64 v[54:55], v[54:55], 0, v[80:81]
	v_cmp_lt_u64_e32 vcc, v[4:5], v[54:55]
	s_and_saveexec_b64 s[46:47], vcc
	s_cbranch_execz .LBB4_183
; %bb.175:                              ;   in Loop: Header=BB4_24 Depth=1
	s_mov_b32 s21, 0
	s_mov_b64 s[56:57], 0
                                        ; implicit-def: $sgpr58_sgpr59
                                        ; implicit-def: $sgpr60_sgpr61
	s_branch .LBB4_177
.LBB4_176:                              ;   in Loop: Header=BB4_177 Depth=2
	s_or_b64 exec, exec, s[72:73]
	s_and_b64 s[62:63], exec, s[74:75]
	s_or_b64 s[56:57], s[62:63], s[56:57]
	s_andn2_b64 s[58:59], s[58:59], exec
	s_and_b64 s[62:63], s[60:61], exec
	s_or_b64 s[58:59], s[58:59], s[62:63]
	s_andn2_b64 exec, exec, s[56:57]
	s_cbranch_execz .LBB4_181
.LBB4_177:                              ;   Parent Loop BB4_24 Depth=1
                                        ; =>  This Inner Loop Header: Depth=2
	s_add_i32 s21, s21, 1
	s_cmpk_lg_i32 s21, 0x2710
	s_cselect_b64 s[62:63], -1, 0
	s_and_b64 vcc, exec, s[62:63]
	s_cbranch_vccz .LBB4_179
; %bb.178:                              ;   in Loop: Header=BB4_177 Depth=2
	s_mov_b64 s[74:75], -1
	s_or_b64 s[60:61], s[60:61], exec
	s_and_saveexec_b64 s[72:73], s[62:63]
	s_cbranch_execz .LBB4_176
	s_branch .LBB4_180
.LBB4_179:                              ;   in Loop: Header=BB4_177 Depth=2
	s_trap 2
	ds_read_b64 v[4:5], v0
	s_andn2_b64 s[62:63], s[62:63], exec
	s_mov_b32 s21, 0
	s_waitcnt lgkmcnt(0)
	flat_load_dword v3, v[4:5] sc0 sc1
	s_waitcnt vmcnt(0) lgkmcnt(0)
	buffer_inv sc0 sc1
	v_cmp_eq_u32_e32 vcc, 0, v3
	s_and_b64 s[72:73], vcc, exec
	s_or_b64 s[62:63], s[62:63], s[72:73]
	s_mov_b64 s[74:75], -1
	s_or_b64 s[60:61], s[60:61], exec
	s_and_saveexec_b64 s[72:73], s[62:63]
	s_cbranch_execz .LBB4_176
.LBB4_180:                              ;   in Loop: Header=BB4_177 Depth=2
	s_sleep 1
	s_trap 2
	ds_read_b64 v[4:5], v0
	s_waitcnt lgkmcnt(0)
	s_andn2_b64 s[60:61], s[60:61], exec
	v_cmp_ge_u64_e32 vcc, v[4:5], v[54:55]
	s_orn2_b64 s[74:75], vcc, exec
	s_branch .LBB4_176
.LBB4_181:                              ;   in Loop: Header=BB4_24 Depth=1
	s_or_b64 exec, exec, s[56:57]
	s_and_saveexec_b64 s[56:57], s[58:59]
	s_xor_b64 s[56:57], exec, s[56:57]
	s_cbranch_execz .LBB4_183
; %bb.182:                              ;   in Loop: Header=BB4_24 Depth=1
	ds_write_b32 v0, v59
	s_trap 2
.LBB4_183:                              ;   in Loop: Header=BB4_24 Depth=1
	s_or_b64 exec, exec, s[46:47]
	;;#ASMSTART
	s_wakeup
	;;#ASMEND
.LBB4_184:                              ;   in Loop: Header=BB4_24 Depth=1
	s_or_b64 exec, exec, s[18:19]
.LBB4_185:                              ;   in Loop: Header=BB4_24 Depth=1
	s_andn2_saveexec_b64 s[16:17], s[16:17]
	s_cbranch_execz .LBB4_187
; %bb.186:                              ;   in Loop: Header=BB4_24 Depth=1
	buffer_wbl2 sc1
	s_waitcnt vmcnt(0) lgkmcnt(0)
	buffer_inv sc1
	s_barrier
.LBB4_187:                              ;   in Loop: Header=BB4_24 Depth=1
	s_or_b64 exec, exec, s[16:17]
	s_or_b64 exec, exec, s[14:15]
	s_and_saveexec_b64 s[14:15], s[10:11]
	s_cbranch_execz .LBB4_23
.LBB4_188:                              ;   in Loop: Header=BB4_24 Depth=1
	v_lshl_add_u64 v[48:49], v[48:49], 0, 1
	flat_store_dwordx2 v[50:51], v[48:49] sc0 sc1
	s_branch .LBB4_23
.LBB4_189:
	s_or_b64 exec, exec, s[28:29]
	s_or_b64 exec, exec, s[24:25]
	s_and_saveexec_b64 s[2:3], s[22:23]
	s_cbranch_execz .LBB4_20
.LBB4_190:
	s_waitcnt vmcnt(0) lgkmcnt(0)
	flat_store_dwordx2 v[32:33], v[48:49] offset:104
	s_or_b64 exec, exec, s[2:3]
	s_and_saveexec_b64 s[2:3], s[0:1]
	s_cbranch_execz .LBB4_21
.LBB4_191:
	s_waitcnt vmcnt(0) lgkmcnt(0)
	flat_store_dwordx2 v[28:29], v[14:15] offset:104
	s_or_b64 exec, exec, s[2:3]
	v_cmp_ne_u32_e32 vcc, 64, v22
	s_and_saveexec_b64 s[0:1], vcc
	s_cbranch_execz .LBB4_209
.LBB4_192:
	v_cmp_ne_u32_sdwa s[2:3], v22, v30 src0_sel:DWORD src1_sel:WORD_0
	s_and_saveexec_b64 s[4:5], s[2:3]
	s_xor_b64 s[2:3], exec, s[4:5]
	s_cbranch_execz .LBB4_207
; %bb.193:
	v_and_b32_e32 v0, 63, v31
	v_cmp_eq_u32_e32 vcc, 0, v0
	s_and_saveexec_b64 s[4:5], vcc
	s_cbranch_execz .LBB4_206
; %bb.194:
	s_mov_b64 s[8:9], exec
	v_mbcnt_lo_u32_b32 v0, s8, 0
	v_mbcnt_hi_u32_b32 v0, s9, v0
	v_cmp_eq_u32_e32 vcc, 0, v0
	buffer_wbl2 sc1
	s_waitcnt vmcnt(0) lgkmcnt(0)
	buffer_inv sc1
	s_and_saveexec_b64 s[6:7], vcc
	s_cbranch_execz .LBB4_196
; %bb.195:
	s_bcnt1_i32_b64 s8, s[8:9]
	v_mov_b32_e32 v0, s8
	v_mov_b32_e32 v1, 0
	ds_add_u64 v0, v[0:1]
	s_trap 2
.LBB4_196:
	s_or_b64 exec, exec, s[6:7]
	s_trap 2
	ds_read_b64 v[2:3], v0
	s_waitcnt lgkmcnt(0)
	v_lshrrev_b32_e32 v0, 6, v22
	v_mov_b32_e32 v1, 0
	v_lshl_add_u64 v[0:1], v[54:55], 0, v[0:1]
	v_cmp_lt_u64_e32 vcc, v[2:3], v[0:1]
	s_and_saveexec_b64 s[6:7], vcc
	s_cbranch_execz .LBB4_205
; %bb.197:
	s_mov_b32 s20, 0
	s_mov_b64 s[8:9], 0
                                        ; implicit-def: $sgpr10_sgpr11
                                        ; implicit-def: $sgpr12_sgpr13
	s_branch .LBB4_199
.LBB4_198:                              ;   in Loop: Header=BB4_199 Depth=1
	s_or_b64 exec, exec, s[16:17]
	s_and_b64 s[14:15], exec, s[18:19]
	s_or_b64 s[8:9], s[14:15], s[8:9]
	s_andn2_b64 s[10:11], s[10:11], exec
	s_and_b64 s[14:15], s[12:13], exec
	s_or_b64 s[10:11], s[10:11], s[14:15]
	s_andn2_b64 exec, exec, s[8:9]
	s_cbranch_execz .LBB4_203
.LBB4_199:                              ; =>This Inner Loop Header: Depth=1
	s_add_i32 s20, s20, 1
	s_cmpk_lg_i32 s20, 0x2710
	s_cselect_b64 s[14:15], -1, 0
	s_and_b64 vcc, exec, s[14:15]
	s_cbranch_vccz .LBB4_201
; %bb.200:                              ;   in Loop: Header=BB4_199 Depth=1
	s_mov_b64 s[18:19], -1
	s_or_b64 s[12:13], s[12:13], exec
	s_and_saveexec_b64 s[16:17], s[14:15]
	s_cbranch_execz .LBB4_198
	s_branch .LBB4_202
.LBB4_201:                              ;   in Loop: Header=BB4_199 Depth=1
	s_trap 2
	ds_read_b64 v[2:3], v0
	s_andn2_b64 s[14:15], s[14:15], exec
	s_mov_b32 s20, 0
	s_waitcnt lgkmcnt(0)
	flat_load_dword v2, v[2:3] sc0 sc1
	s_waitcnt vmcnt(0) lgkmcnt(0)
	buffer_inv sc0 sc1
	v_cmp_eq_u32_e32 vcc, 0, v2
	s_and_b64 s[16:17], vcc, exec
	s_or_b64 s[14:15], s[14:15], s[16:17]
	s_mov_b64 s[18:19], -1
	s_or_b64 s[12:13], s[12:13], exec
	s_and_saveexec_b64 s[16:17], s[14:15]
	s_cbranch_execz .LBB4_198
.LBB4_202:                              ;   in Loop: Header=BB4_199 Depth=1
	s_sleep 1
	s_trap 2
	ds_read_b64 v[2:3], v0
	s_waitcnt lgkmcnt(0)
	s_andn2_b64 s[12:13], s[12:13], exec
	v_cmp_ge_u64_e32 vcc, v[2:3], v[0:1]
	s_orn2_b64 s[18:19], vcc, exec
	s_branch .LBB4_198
.LBB4_203:
	s_or_b64 exec, exec, s[8:9]
	s_and_saveexec_b64 s[8:9], s[10:11]
	s_xor_b64 s[8:9], exec, s[8:9]
	s_cbranch_execz .LBB4_205
; %bb.204:
	v_mov_b32_e32 v0, 1
	ds_write_b32 v0, v0
	s_trap 2
.LBB4_205:
	s_or_b64 exec, exec, s[6:7]
	;;#ASMSTART
	s_wakeup
	;;#ASMEND
.LBB4_206:
	s_or_b64 exec, exec, s[4:5]
.LBB4_207:
	s_andn2_saveexec_b64 s[2:3], s[2:3]
	s_cbranch_execz .LBB4_209
; %bb.208:
	buffer_wbl2 sc1
	s_waitcnt vmcnt(0) lgkmcnt(0)
	buffer_inv sc1
	s_barrier
.LBB4_209:
	s_or_b64 exec, exec, s[0:1]
	scratch_load_dword v75, off, s32        ; 4-byte Folded Reload
	scratch_load_dword v74, off, s32 offset:4 ; 4-byte Folded Reload
	scratch_load_dword v73, off, s32 offset:8 ; 4-byte Folded Reload
	;; [unrolled: 1-line block ×19, first 2 shown]
	s_waitcnt vmcnt(0) lgkmcnt(0)
	s_setpc_b64 s[30:31]
.Lfunc_end4:
	.size	_ZN12_GLOBAL__N_17runRingId8FuncProdIdE7ProtoLLLi0ELi4ELi0EEEviiP15ncclDevWorkColl, .Lfunc_end4-_ZN12_GLOBAL__N_17runRingId8FuncProdIdE7ProtoLLLi0ELi4ELi0EEEviiP15ncclDevWorkColl
                                        ; -- End function
	.set .L_ZN12_GLOBAL__N_17runRingId8FuncProdIdE7ProtoLLLi0ELi4ELi0EEEviiP15ncclDevWorkColl.num_vgpr, 120
	.set .L_ZN12_GLOBAL__N_17runRingId8FuncProdIdE7ProtoLLLi0ELi4ELi0EEEviiP15ncclDevWorkColl.num_agpr, 0
	.set .L_ZN12_GLOBAL__N_17runRingId8FuncProdIdE7ProtoLLLi0ELi4ELi0EEEviiP15ncclDevWorkColl.numbered_sgpr, 90
	.set .L_ZN12_GLOBAL__N_17runRingId8FuncProdIdE7ProtoLLLi0ELi4ELi0EEEviiP15ncclDevWorkColl.num_named_barrier, 0
	.set .L_ZN12_GLOBAL__N_17runRingId8FuncProdIdE7ProtoLLLi0ELi4ELi0EEEviiP15ncclDevWorkColl.private_seg_size, 84
	.set .L_ZN12_GLOBAL__N_17runRingId8FuncProdIdE7ProtoLLLi0ELi4ELi0EEEviiP15ncclDevWorkColl.uses_vcc, 1
	.set .L_ZN12_GLOBAL__N_17runRingId8FuncProdIdE7ProtoLLLi0ELi4ELi0EEEviiP15ncclDevWorkColl.uses_flat_scratch, 0
	.set .L_ZN12_GLOBAL__N_17runRingId8FuncProdIdE7ProtoLLLi0ELi4ELi0EEEviiP15ncclDevWorkColl.has_dyn_sized_stack, 0
	.set .L_ZN12_GLOBAL__N_17runRingId8FuncProdIdE7ProtoLLLi0ELi4ELi0EEEviiP15ncclDevWorkColl.has_recursion, 0
	.set .L_ZN12_GLOBAL__N_17runRingId8FuncProdIdE7ProtoLLLi0ELi4ELi0EEEviiP15ncclDevWorkColl.has_indirect_call, 0
	.section	.AMDGPU.csdata,"",@progbits
; Function info:
; codeLenInByte = 6564
; TotalNumSgprs: 96
; NumVgprs: 120
; NumAgprs: 0
; TotalNumVgprs: 120
; ScratchSize: 84
; MemoryBound: 0
	.text
	.p2align	2                               ; -- Begin function _Z48ncclDevFunc_ReduceScatter_RING_LL_Prod_f64_0_0_4v
	.type	_Z48ncclDevFunc_ReduceScatter_RING_LL_Prod_f64_0_0_4v,@function
_Z48ncclDevFunc_ReduceScatter_RING_LL_Prod_f64_0_0_4v: ; @_Z48ncclDevFunc_ReduceScatter_RING_LL_Prod_f64_0_0_4v
; %bb.0:
	s_waitcnt vmcnt(0) expcnt(0) lgkmcnt(0)
	s_mov_b32 s0, s33
	s_mov_b32 s33, s32
	s_or_saveexec_b64 s[2:3], -1
	scratch_store_dword off, v42, s33 offset:8 ; 4-byte Folded Spill
	s_mov_b64 exec, s[2:3]
	v_writelane_b32 v42, s0, 2
	s_add_i32 s32, s32, 16
	scratch_store_dword off, v40, s33 offset:4 ; 4-byte Folded Spill
	scratch_store_dword off, v41, s33       ; 4-byte Folded Spill
	v_writelane_b32 v42, s30, 0
	s_nop 1
	v_writelane_b32 v42, s31, 1
	s_trap 2
	ds_read_b32 v0, v0
	s_waitcnt lgkmcnt(0)
	v_cmp_gt_i32_e32 vcc, 1, v0
	s_cbranch_vccnz .LBB5_8
; %bb.1:
	s_mov_b32 s92, s12
	s_mov_b64 s[90:91], s[8:9]
	s_mov_b32 s93, 0
	v_and_b32_e32 v40, 0x3ff, v31
	v_mov_b32_e32 v41, 6
	s_branch .LBB5_3
.LBB5_2:                                ;   in Loop: Header=BB5_3 Depth=1
	s_or_b64 exec, exec, s[94:95]
	s_trap 2
	ds_read_b32 v0, v0
	s_add_i32 s93, s93, 1
	s_waitcnt lgkmcnt(0)
	v_cmp_lt_i32_e32 vcc, s93, v0
	s_cbranch_vccz .LBB5_8
.LBB5_3:                                ; =>This Inner Loop Header: Depth=1
	s_trap 2
	ds_read_b32 v0, v0
	s_cmp_eq_u32 s93, 0
	s_cbranch_scc1 .LBB5_6
; %bb.4:                                ;   in Loop: Header=BB5_3 Depth=1
	s_trap 2
	s_waitcnt lgkmcnt(0)
	ds_read_b32 v1, v0
	s_waitcnt lgkmcnt(0)
	v_xor_b32_e32 v1, v1, v0
	v_and_b32_e32 v1, 0xff0000, v1
	v_cmp_eq_u32_e32 vcc, 0, v1
	s_cbranch_vccnz .LBB5_6
; %bb.5:                                ;   in Loop: Header=BB5_3 Depth=1
	s_barrier
	ds_read_b32 v0, v0
.LBB5_6:                                ;   in Loop: Header=BB5_3 Depth=1
	s_waitcnt lgkmcnt(0)
	v_lshlrev_b32_sdwa v1, v41, v0 dst_sel:DWORD dst_unused:UNUSED_PAD src0_sel:DWORD src1_sel:BYTE_2
	v_cmp_lt_u32_e32 vcc, v40, v1
	s_and_saveexec_b64 s[94:95], vcc
	s_cbranch_execz .LBB5_2
; %bb.7:                                ;   in Loop: Header=BB5_3 Depth=1
	s_mov_b64 s[0:1], src_shared_base
	s_getpc_b64 s[2:3]
	s_add_u32 s2, s2, _ZN12_GLOBAL__N_17runRingId8FuncProdIdE7ProtoLLLi0ELi4ELi0EEEviiP15ncclDevWorkColl@rel32@lo+4
	s_addc_u32 s3, s3, _ZN12_GLOBAL__N_17runRingId8FuncProdIdE7ProtoLLLi0ELi4ELi0EEEviiP15ncclDevWorkColl@rel32@hi+12
	s_mov_b64 s[8:9], s[90:91]
	s_mov_b32 s12, s92
	v_mov_b32_e32 v0, v40
	v_mov_b32_e32 v3, s1
	s_swappc_b64 s[30:31], s[2:3]
	s_branch .LBB5_2
.LBB5_8:
	scratch_load_dword v41, off, s33        ; 4-byte Folded Reload
	scratch_load_dword v40, off, s33 offset:4 ; 4-byte Folded Reload
	v_readlane_b32 s30, v42, 0
	v_readlane_b32 s31, v42, 1
	s_mov_b32 s32, s33
	v_readlane_b32 s0, v42, 2
	s_or_saveexec_b64 s[2:3], -1
	scratch_load_dword v42, off, s33 offset:8 ; 4-byte Folded Reload
	s_mov_b64 exec, s[2:3]
	s_mov_b32 s33, s0
	s_waitcnt vmcnt(0)
	s_setpc_b64 s[30:31]
.Lfunc_end5:
	.size	_Z48ncclDevFunc_ReduceScatter_RING_LL_Prod_f64_0_0_4v, .Lfunc_end5-_Z48ncclDevFunc_ReduceScatter_RING_LL_Prod_f64_0_0_4v
                                        ; -- End function
	.set .L_Z48ncclDevFunc_ReduceScatter_RING_LL_Prod_f64_0_0_4v.num_vgpr, max(43, .L_ZN12_GLOBAL__N_17runRingId8FuncProdIdE7ProtoLLLi0ELi4ELi0EEEviiP15ncclDevWorkColl.num_vgpr)
	.set .L_Z48ncclDevFunc_ReduceScatter_RING_LL_Prod_f64_0_0_4v.num_agpr, max(0, .L_ZN12_GLOBAL__N_17runRingId8FuncProdIdE7ProtoLLLi0ELi4ELi0EEEviiP15ncclDevWorkColl.num_agpr)
	.set .L_Z48ncclDevFunc_ReduceScatter_RING_LL_Prod_f64_0_0_4v.numbered_sgpr, max(96, .L_ZN12_GLOBAL__N_17runRingId8FuncProdIdE7ProtoLLLi0ELi4ELi0EEEviiP15ncclDevWorkColl.numbered_sgpr)
	.set .L_Z48ncclDevFunc_ReduceScatter_RING_LL_Prod_f64_0_0_4v.num_named_barrier, max(0, .L_ZN12_GLOBAL__N_17runRingId8FuncProdIdE7ProtoLLLi0ELi4ELi0EEEviiP15ncclDevWorkColl.num_named_barrier)
	.set .L_Z48ncclDevFunc_ReduceScatter_RING_LL_Prod_f64_0_0_4v.private_seg_size, 16+max(.L_ZN12_GLOBAL__N_17runRingId8FuncProdIdE7ProtoLLLi0ELi4ELi0EEEviiP15ncclDevWorkColl.private_seg_size)
	.set .L_Z48ncclDevFunc_ReduceScatter_RING_LL_Prod_f64_0_0_4v.uses_vcc, or(1, .L_ZN12_GLOBAL__N_17runRingId8FuncProdIdE7ProtoLLLi0ELi4ELi0EEEviiP15ncclDevWorkColl.uses_vcc)
	.set .L_Z48ncclDevFunc_ReduceScatter_RING_LL_Prod_f64_0_0_4v.uses_flat_scratch, or(0, .L_ZN12_GLOBAL__N_17runRingId8FuncProdIdE7ProtoLLLi0ELi4ELi0EEEviiP15ncclDevWorkColl.uses_flat_scratch)
	.set .L_Z48ncclDevFunc_ReduceScatter_RING_LL_Prod_f64_0_0_4v.has_dyn_sized_stack, or(0, .L_ZN12_GLOBAL__N_17runRingId8FuncProdIdE7ProtoLLLi0ELi4ELi0EEEviiP15ncclDevWorkColl.has_dyn_sized_stack)
	.set .L_Z48ncclDevFunc_ReduceScatter_RING_LL_Prod_f64_0_0_4v.has_recursion, or(1, .L_ZN12_GLOBAL__N_17runRingId8FuncProdIdE7ProtoLLLi0ELi4ELi0EEEviiP15ncclDevWorkColl.has_recursion)
	.set .L_Z48ncclDevFunc_ReduceScatter_RING_LL_Prod_f64_0_0_4v.has_indirect_call, or(0, .L_ZN12_GLOBAL__N_17runRingId8FuncProdIdE7ProtoLLLi0ELi4ELi0EEEviiP15ncclDevWorkColl.has_indirect_call)
	.section	.AMDGPU.csdata,"",@progbits
; Function info:
; codeLenInByte = 376
; TotalNumSgprs: 102
; NumVgprs: 120
; NumAgprs: 0
; TotalNumVgprs: 120
; ScratchSize: 100
; MemoryBound: 0
	.text
	.p2alignl 6, 3212836864
	.fill 256, 4, 3212836864
	.section	.AMDGPU.gpr_maximums,"",@progbits
	.set amdgpu.max_num_vgpr, 120
	.set amdgpu.max_num_agpr, 0
	.set amdgpu.max_num_sgpr, 96
	.text
	.type	__hip_cuid_d154b34533a5a41c,@object ; @__hip_cuid_d154b34533a5a41c
	.section	.bss,"aw",@nobits
	.globl	__hip_cuid_d154b34533a5a41c
__hip_cuid_d154b34533a5a41c:
	.byte	0                               ; 0x0
	.size	__hip_cuid_d154b34533a5a41c, 1

	.ident	"AMD clang version 22.0.0git (https://github.com/RadeonOpenCompute/llvm-project roc-7.2.4 26084 f58b06dce1f9c15707c5f808fd002e18c2accf7e)"
	.section	".note.GNU-stack","",@progbits
	.addrsig
	.addrsig_sym _Z48ncclDevFunc_ReduceScatter_RING_LL_Prod_f64_0_0_1v
	.addrsig_sym _Z48ncclDevFunc_ReduceScatter_RING_LL_Prod_f64_0_0_2v
	.addrsig_sym _Z48ncclDevFunc_ReduceScatter_RING_LL_Prod_f64_0_0_4v
	.addrsig_sym ncclShmem
	.addrsig_sym __hip_cuid_d154b34533a5a41c
	.amdgpu_metadata
---
amdhsa.kernels:  []
amdhsa.target:   amdgcn-amd-amdhsa--gfx950
amdhsa.version:
  - 1
  - 2
...

	.end_amdgpu_metadata
